;; amdgpu-corpus repo=zjin-lcf/HeCBench kind=compiled arch=gfx906 opt=O3
	.amdgcn_target "amdgcn-amd-amdhsa--gfx906"
	.amdhsa_code_object_version 6
	.text
	.p2align	2                               ; -- Begin function _Z15cuda_rys_pbf_dpPKdS0_S0_S0_
	.type	_Z15cuda_rys_pbf_dpPKdS0_S0_S0_,@function
_Z15cuda_rys_pbf_dpPKdS0_S0_S0_:        ; @_Z15cuda_rys_pbf_dpPKdS0_S0_S0_
; %bb.0:
	s_waitcnt vmcnt(0) expcnt(0) lgkmcnt(0)
	s_mov_b32 s16, s33
	s_mov_b32 s33, s32
	s_or_saveexec_b64 s[18:19], -1
	buffer_store_dword v63, off, s[0:3], s33 offset:1040 ; 4-byte Folded Spill
	buffer_store_dword v61, off, s[0:3], s33 offset:1044 ; 4-byte Folded Spill
	;; [unrolled: 1-line block ×3, first 2 shown]
	s_mov_b64 exec, s[18:19]
	v_writelane_b32 v63, s16, 36
	s_add_i32 s32, s32, 0x10800
	buffer_store_dword v40, off, s[0:3], s33 offset:48 ; 4-byte Folded Spill
	buffer_store_dword v41, off, s[0:3], s33 offset:44 ; 4-byte Folded Spill
	;; [unrolled: 1-line block ×12, first 2 shown]
	buffer_store_dword v60, off, s[0:3], s33 ; 4-byte Folded Spill
	v_writelane_b32 v63, s34, 0
	v_writelane_b32 v63, s35, 1
	;; [unrolled: 1-line block ×36, first 2 shown]
	buffer_store_dword v31, off, s[0:3], s33 offset:584 ; 4-byte Folded Spill
	flat_load_dwordx4 v[22:25], v[0:1]
	flat_load_dwordx4 v[8:11], v[0:1] offset:16
	flat_load_dwordx4 v[16:19], v[0:1] offset:32
	s_mov_b64 s[46:47], s[4:5]
	s_mov_b32 s89, s15
	s_mov_b32 s37, s14
	s_mov_b32 s91, s13
	s_mov_b32 s90, s12
	s_mov_b64 s[92:93], s[10:11]
	s_mov_b64 s[94:95], s[8:9]
	;; [unrolled: 1-line block ×3, first 2 shown]
	s_waitcnt vmcnt(0) lgkmcnt(0)
	v_cvt_i32_f64_e32 v34, v[10:11]
	v_cvt_i32_f64_e32 v16, v[16:17]
	;; [unrolled: 1-line block ×3, first 2 shown]
	flat_load_dwordx4 v[48:51], v[0:1] offset:48
	flat_load_dwordx4 v[12:15], v[2:3]
	flat_load_dwordx4 v[17:20], v[2:3] offset:16
	s_waitcnt vmcnt(0) lgkmcnt(0)
	v_mov_b32_e32 v46, v18
	v_cvt_i32_f64_e32 v40, v[19:20]
	v_mov_b32_e32 v45, v17
	flat_load_dwordx4 v[18:21], v[2:3] offset:32
	flat_load_dwordx4 v[52:55], v[2:3] offset:48
	s_nop 0
	flat_load_dwordx4 v[0:3], v[4:5]
	s_waitcnt vmcnt(0) lgkmcnt(0)
	buffer_store_dword v0, off, s[0:3], s33 offset:596 ; 4-byte Folded Spill
	s_nop 0
	buffer_store_dword v1, off, s[0:3], s33 offset:600 ; 4-byte Folded Spill
	buffer_store_dword v2, off, s[0:3], s33 offset:604 ; 4-byte Folded Spill
	;; [unrolled: 1-line block ×3, first 2 shown]
	flat_load_dwordx4 v[0:3], v[4:5] offset:16
	s_nop 0
	flat_load_dwordx4 v[26:29], v[4:5] offset:32
	v_cvt_i32_f64_e32 v10, v[18:19]
	v_cvt_i32_f64_e32 v11, v[20:21]
	s_waitcnt vmcnt(0) lgkmcnt(0)
	v_cvt_i32_f64_e32 v36, v[2:3]
	v_cvt_i32_f64_e32 v35, v[26:27]
	;; [unrolled: 1-line block ×3, first 2 shown]
	flat_load_dwordx4 v[41:44], v[4:5] offset:48
	flat_load_dwordx4 v[18:21], v[6:7]
	flat_load_dwordx4 v[26:29], v[6:7] offset:16
	flat_load_dwordx4 v[30:33], v[6:7] offset:32
	;; [unrolled: 1-line block ×3, first 2 shown]
	v_add_f64 v[6:7], v[48:49], v[52:53]
	v_add_u32_e32 v2, v16, v34
	v_add3_u32 v2, v2, v60, v40
	v_add3_u32 v2, v2, v10, v11
	buffer_store_dword v16, off, s[0:3], s33 offset:612 ; 4-byte Folded Spill
	buffer_store_dword v34, off, s[0:3], s33 offset:620 ; 4-byte Folded Spill
	;; [unrolled: 1-line block ×6, first 2 shown]
	v_add3_u32 v2, v2, v36, v35
	s_waitcnt vmcnt(0) lgkmcnt(0)
	v_cvt_i32_f64_e32 v3, v[28:29]
	v_cvt_i32_f64_e32 v4, v[30:31]
	v_mul_f64 v[30:31], v[12:13], v[52:53]
	v_cvt_i32_f64_e32 v5, v[32:33]
	v_add3_u32 v2, v2, v17, v3
	buffer_store_dword v3, off, s[0:3], s33 offset:644 ; 4-byte Folded Spill
	buffer_store_dword v17, off, s[0:3], s33 offset:628 ; 4-byte Folded Spill
	;; [unrolled: 1-line block ×4, first 2 shown]
	v_add3_u32 v10, v2, v4, v5
	v_lshrrev_b32_e32 v2, 31, v10
	v_add_u32_e32 v2, v10, v2
	v_fma_f64 v[30:31], v[22:23], v[48:49], v[30:31]
	v_ashrrev_i32_e32 v2, 1, v2
	buffer_store_dword v2, off, s[0:3], s33 offset:828 ; 4-byte Folded Spill
	buffer_store_dword v12, off, s[0:3], s33 offset:676 ; 4-byte Folded Spill
	s_nop 0
	buffer_store_dword v13, off, s[0:3], s33 offset:680 ; 4-byte Folded Spill
	buffer_store_dword v14, off, s[0:3], s33 offset:684 ; 4-byte Folded Spill
	;; [unrolled: 1-line block ×4, first 2 shown]
	s_nop 0
	buffer_store_dword v23, off, s[0:3], s33 offset:696 ; 4-byte Folded Spill
	buffer_store_dword v24, off, s[0:3], s33 offset:700 ; 4-byte Folded Spill
	;; [unrolled: 1-line block ×3, first 2 shown]
	v_add_f64 v[4:5], v[41:42], v[56:57]
	v_mov_b32_e32 v2, v45
	v_mov_b32_e32 v3, v46
	v_div_scale_f64 v[32:33], s[4:5], v[6:7], v[6:7], v[30:31]
	v_rcp_f64_e32 v[34:35], v[32:33]
	v_fma_f64 v[36:37], -v[32:33], v[34:35], 1.0
	v_fma_f64 v[34:35], v[34:35], v[36:37], v[34:35]
	v_fma_f64 v[36:37], -v[32:33], v[34:35], 1.0
	v_fma_f64 v[34:35], v[34:35], v[36:37], v[34:35]
	v_div_scale_f64 v[36:37], vcc, v[30:31], v[6:7], v[30:31]
	v_mul_f64 v[38:39], v[36:37], v[34:35]
	v_fma_f64 v[32:33], -v[32:33], v[38:39], v[36:37]
	s_nop 1
	v_div_fmas_f64 v[32:33], v[32:33], v[34:35], v[38:39]
	v_div_fixup_f64 v[28:29], v[32:33], v[6:7], v[30:31]
	v_mul_f64 v[30:31], v[14:15], v[52:53]
	buffer_store_dword v52, off, s[0:3], s33 offset:984 ; 4-byte Folded Spill
	s_nop 0
	buffer_store_dword v53, off, s[0:3], s33 offset:988 ; 4-byte Folded Spill
	buffer_store_dword v54, off, s[0:3], s33 offset:992 ; 4-byte Folded Spill
	buffer_store_dword v55, off, s[0:3], s33 offset:996 ; 4-byte Folded Spill
	buffer_store_dword v2, off, s[0:3], s33 offset:660 ; 4-byte Folded Spill
	s_nop 0
	buffer_store_dword v3, off, s[0:3], s33 offset:664 ; 4-byte Folded Spill
	buffer_store_dword v4, off, s[0:3], s33 offset:668 ; 4-byte Folded Spill
	;; [unrolled: 1-line block ×3, first 2 shown]
	v_mov_b32_e32 v2, v8
	v_mov_b32_e32 v3, v9
	;; [unrolled: 1-line block ×4, first 2 shown]
	v_fma_f64 v[30:31], v[24:25], v[48:49], v[30:31]
	buffer_store_dword v48, off, s[0:3], s33 offset:968 ; 4-byte Folded Spill
	s_nop 0
	buffer_store_dword v49, off, s[0:3], s33 offset:972 ; 4-byte Folded Spill
	buffer_store_dword v50, off, s[0:3], s33 offset:976 ; 4-byte Folded Spill
	;; [unrolled: 1-line block ×3, first 2 shown]
	v_mov_b32_e32 v25, v21
	v_mov_b32_e32 v24, v20
	;; [unrolled: 1-line block ×4, first 2 shown]
	buffer_store_dword v2, off, s[0:3], s33 offset:764 ; 4-byte Folded Spill
	s_nop 0
	buffer_store_dword v3, off, s[0:3], s33 offset:768 ; 4-byte Folded Spill
	buffer_store_dword v4, off, s[0:3], s33 offset:772 ; 4-byte Folded Spill
	;; [unrolled: 1-line block ×3, first 2 shown]
	v_div_scale_f64 v[32:33], s[4:5], v[6:7], v[6:7], v[30:31]
	v_rcp_f64_e32 v[34:35], v[32:33]
	v_fma_f64 v[36:37], -v[32:33], v[34:35], 1.0
	v_fma_f64 v[34:35], v[34:35], v[36:37], v[34:35]
	v_fma_f64 v[36:37], -v[32:33], v[34:35], 1.0
	v_fma_f64 v[34:35], v[34:35], v[36:37], v[34:35]
	v_div_scale_f64 v[36:37], vcc, v[30:31], v[6:7], v[30:31]
	v_mul_f64 v[38:39], v[36:37], v[34:35]
	v_add_f64 v[2:3], v[6:7], v[4:5]
	v_fma_f64 v[32:33], -v[32:33], v[38:39], v[36:37]
	s_nop 0
	v_div_fmas_f64 v[32:33], v[32:33], v[34:35], v[38:39]
	v_div_fixup_f64 v[12:13], v[32:33], v[6:7], v[30:31]
	v_mul_f64 v[32:33], v[45:46], v[52:53]
	buffer_load_dword v52, off, s[0:3], s33 offset:596 ; 4-byte Folded Reload
	buffer_load_dword v53, off, s[0:3], s33 offset:600 ; 4-byte Folded Reload
	buffer_load_dword v54, off, s[0:3], s33 offset:604 ; 4-byte Folded Reload
	buffer_load_dword v55, off, s[0:3], s33 offset:608 ; 4-byte Folded Reload
	v_fma_f64 v[32:33], v[8:9], v[48:49], v[32:33]
	v_mov_b32_e32 v9, v1
	v_mov_b32_e32 v8, v0
	v_div_scale_f64 v[34:35], s[4:5], v[6:7], v[6:7], v[32:33]
	v_rcp_f64_e32 v[36:37], v[34:35]
	v_fma_f64 v[38:39], -v[34:35], v[36:37], 1.0
	v_fma_f64 v[36:37], v[36:37], v[38:39], v[36:37]
	v_fma_f64 v[38:39], -v[34:35], v[36:37], 1.0
	v_fma_f64 v[36:37], v[36:37], v[38:39], v[36:37]
	v_div_scale_f64 v[38:39], vcc, v[32:33], v[6:7], v[32:33]
	v_mul_f64 v[48:49], v[38:39], v[36:37]
	v_fma_f64 v[34:35], -v[34:35], v[48:49], v[38:39]
	s_nop 1
	v_div_fmas_f64 v[34:35], v[34:35], v[36:37], v[48:49]
	v_div_fixup_f64 v[16:17], v[34:35], v[6:7], v[32:33]
	v_mul_f64 v[34:35], v[18:19], v[56:57]
	s_waitcnt vmcnt(2)
	v_fma_f64 v[34:35], v[52:53], v[41:42], v[34:35]
	v_div_scale_f64 v[36:37], s[4:5], v[4:5], v[4:5], v[34:35]
	v_rcp_f64_e32 v[38:39], v[36:37]
	v_fma_f64 v[48:49], -v[36:37], v[38:39], 1.0
	v_fma_f64 v[38:39], v[38:39], v[48:49], v[38:39]
	v_fma_f64 v[48:49], -v[36:37], v[38:39], 1.0
	v_fma_f64 v[38:39], v[38:39], v[48:49], v[38:39]
	v_div_scale_f64 v[48:49], vcc, v[34:35], v[4:5], v[34:35]
	v_mul_f64 v[50:51], v[48:49], v[38:39]
	v_fma_f64 v[36:37], -v[36:37], v[50:51], v[48:49]
	s_nop 1
	v_div_fmas_f64 v[36:37], v[36:37], v[38:39], v[50:51]
	v_div_fixup_f64 v[30:31], v[36:37], v[4:5], v[34:35]
	v_mul_f64 v[36:37], v[20:21], v[56:57]
	s_waitcnt vmcnt(0)
	v_mov_b32_e32 v32, v52
	v_mov_b32_e32 v34, v54
	;; [unrolled: 1-line block ×3, first 2 shown]
	buffer_store_dword v56, off, s[0:3], s33 offset:1016 ; 4-byte Folded Spill
	s_nop 0
	buffer_store_dword v57, off, s[0:3], s33 offset:1020 ; 4-byte Folded Spill
	buffer_store_dword v58, off, s[0:3], s33 offset:1024 ; 4-byte Folded Spill
	;; [unrolled: 1-line block ×3, first 2 shown]
	v_mov_b32_e32 v18, v52
	v_mov_b32_e32 v33, v53
	;; [unrolled: 1-line block ×3, first 2 shown]
	v_fma_f64 v[36:37], v[34:35], v[41:42], v[36:37]
	buffer_store_dword v41, off, s[0:3], s33 offset:1000 ; 4-byte Folded Spill
	s_nop 0
	buffer_store_dword v42, off, s[0:3], s33 offset:1004 ; 4-byte Folded Spill
	buffer_store_dword v43, off, s[0:3], s33 offset:1008 ; 4-byte Folded Spill
	;; [unrolled: 1-line block ×3, first 2 shown]
	v_mov_b32_e32 v20, v54
	v_mov_b32_e32 v21, v55
	v_mul_f64 v[34:35], v[6:7], v[4:5]
	v_div_scale_f64 v[38:39], s[4:5], v[4:5], v[4:5], v[36:37]
	v_rcp_f64_e32 v[48:49], v[38:39]
	v_fma_f64 v[50:51], -v[38:39], v[48:49], 1.0
	v_fma_f64 v[48:49], v[48:49], v[50:51], v[48:49]
	v_fma_f64 v[50:51], -v[38:39], v[48:49], 1.0
	v_fma_f64 v[48:49], v[48:49], v[50:51], v[48:49]
	v_div_scale_f64 v[50:51], vcc, v[36:37], v[4:5], v[36:37]
	v_mul_f64 v[52:53], v[50:51], v[48:49]
	v_fma_f64 v[38:39], -v[38:39], v[52:53], v[50:51]
	s_nop 1
	v_div_fmas_f64 v[38:39], v[38:39], v[48:49], v[52:53]
	v_div_fixup_f64 v[32:33], v[38:39], v[4:5], v[36:37]
	v_mul_f64 v[38:39], v[26:27], v[56:57]
	v_fma_f64 v[38:39], v[0:1], v[41:42], v[38:39]
	v_div_scale_f64 v[48:49], s[4:5], v[4:5], v[4:5], v[38:39]
	v_rcp_f64_e32 v[50:51], v[48:49]
	v_fma_f64 v[52:53], -v[48:49], v[50:51], 1.0
	v_fma_f64 v[50:51], v[50:51], v[52:53], v[50:51]
	v_fma_f64 v[52:53], -v[48:49], v[50:51], 1.0
	v_fma_f64 v[50:51], v[50:51], v[52:53], v[50:51]
	v_div_scale_f64 v[52:53], vcc, v[38:39], v[4:5], v[38:39]
	v_mul_f64 v[54:55], v[52:53], v[50:51]
	v_fma_f64 v[48:49], -v[48:49], v[54:55], v[52:53]
	s_nop 1
	v_div_fmas_f64 v[48:49], v[48:49], v[50:51], v[54:55]
	v_div_fixup_f64 v[26:27], v[48:49], v[4:5], v[38:39]
	v_div_scale_f64 v[48:49], s[4:5], v[2:3], v[2:3], v[34:35]
	v_rcp_f64_e32 v[50:51], v[48:49]
	v_fma_f64 v[52:53], -v[48:49], v[50:51], 1.0
	v_fma_f64 v[50:51], v[50:51], v[52:53], v[50:51]
	v_fma_f64 v[52:53], -v[48:49], v[50:51], 1.0
	v_fma_f64 v[50:51], v[50:51], v[52:53], v[50:51]
	v_div_scale_f64 v[52:53], vcc, v[34:35], v[2:3], v[34:35]
	buffer_store_dword v2, off, s[0:3], s33 offset:836 ; 4-byte Folded Spill
	s_nop 0
	buffer_store_dword v3, off, s[0:3], s33 offset:840 ; 4-byte Folded Spill
	buffer_store_dword v30, off, s[0:3], s33 offset:748 ; 4-byte Folded Spill
	s_nop 0
	buffer_store_dword v31, off, s[0:3], s33 offset:752 ; 4-byte Folded Spill
	;; [unrolled: 3-line block ×4, first 2 shown]
	v_mul_f64 v[54:55], v[52:53], v[50:51]
	v_fma_f64 v[48:49], -v[48:49], v[54:55], v[52:53]
	v_div_fmas_f64 v[48:49], v[48:49], v[50:51], v[54:55]
	v_cmp_lt_i32_e32 vcc, 5, v10
	v_div_fixup_f64 v[2:3], v[48:49], v[2:3], v[34:35]
	buffer_store_dword v2, off, s[0:3], s33 offset:1032 ; 4-byte Folded Spill
	s_nop 0
	buffer_store_dword v3, off, s[0:3], s33 offset:1036 ; 4-byte Folded Spill
	v_add_f64 v[50:51], v[12:13], -v[32:33]
	v_add_f64 v[48:49], v[28:29], -v[30:31]
	v_mul_f64 v[50:51], v[50:51], v[50:51]
	v_fma_f64 v[48:49], v[48:49], v[48:49], v[50:51]
	v_add_f64 v[50:51], v[16:17], -v[26:27]
	v_fma_f64 v[48:49], v[50:51], v[50:51], v[48:49]
	v_mul_f64 v[50:51], v[2:3], v[48:49]
	s_and_saveexec_b64 s[4:5], vcc
                                        ; implicit-def: $vgpr61 : SGPR spill to VGPR lane
	s_xor_b64 s[6:7], exec, s[4:5]
	v_writelane_b32 v61, s46, 0
	v_writelane_b32 v61, s47, 1
	s_cbranch_execz .LBB0_82
; %bb.1:
	buffer_load_dword v2, off, s[0:3], s33 offset:828 ; 4-byte Folded Reload
	s_waitcnt vmcnt(0)
	v_cmp_lt_i32_e32 vcc, 3, v2
	s_and_saveexec_b64 s[4:5], vcc
	s_xor_b64 s[8:9], exec, s[4:5]
	s_cbranch_execz .LBB0_41
; %bb.2:
	buffer_load_dword v2, off, s[0:3], s33 offset:828 ; 4-byte Folded Reload
	s_waitcnt vmcnt(0)
	v_cmp_eq_u32_e32 vcc, 4, v2
	s_and_saveexec_b64 s[10:11], vcc
	s_cbranch_execz .LBB0_40
; %bb.3:
	s_mov_b32 s4, 0xf40d8376
	s_mov_b32 s5, 0x3e9421f5
	v_cmp_ngt_f64_e32 vcc, s[4:5], v[50:51]
                                        ; implicit-def: $vgpr38_vgpr39
                                        ; implicit-def: $vgpr58_vgpr59
                                        ; implicit-def: $vgpr56_vgpr57
                                        ; implicit-def: $vgpr46_vgpr47
                                        ; implicit-def: $vgpr44_vgpr45
                                        ; implicit-def: $vgpr41_vgpr42
                                        ; implicit-def: $vgpr54_vgpr55
                                        ; implicit-def: $vgpr52_vgpr53
                                        ; implicit-def: $vgpr36_vgpr37
                                        ; implicit-def: $vgpr48_vgpr49
	s_and_saveexec_b64 s[4:5], vcc
	s_xor_b64 s[12:13], exec, s[4:5]
	s_cbranch_execz .LBB0_37
; %bb.4:
	v_cmp_ngt_f64_e32 vcc, 1.0, v[50:51]
                                        ; implicit-def: $vgpr38_vgpr39
                                        ; implicit-def: $vgpr58_vgpr59
                                        ; implicit-def: $vgpr56_vgpr57
                                        ; implicit-def: $vgpr46_vgpr47
                                        ; implicit-def: $vgpr44_vgpr45
                                        ; implicit-def: $vgpr41_vgpr42
                                        ; implicit-def: $vgpr54_vgpr55
                                        ; implicit-def: $vgpr52_vgpr53
                                        ; implicit-def: $vgpr36_vgpr37
                                        ; implicit-def: $vgpr48_vgpr49
	s_and_saveexec_b64 s[4:5], vcc
	s_xor_b64 s[14:15], exec, s[4:5]
	s_cbranch_execz .LBB0_34
; %bb.5:
	s_mov_b32 s4, 0
	s_mov_b32 s5, 0x40140000
	v_cmp_ngt_f64_e32 vcc, s[4:5], v[50:51]
                                        ; implicit-def: $vgpr38_vgpr39
                                        ; implicit-def: $vgpr58_vgpr59
                                        ; implicit-def: $vgpr56_vgpr57
                                        ; implicit-def: $vgpr46_vgpr47
                                        ; implicit-def: $vgpr44_vgpr45
                                        ; implicit-def: $vgpr41_vgpr42
                                        ; implicit-def: $vgpr54_vgpr55
                                        ; implicit-def: $vgpr52_vgpr53
                                        ; implicit-def: $vgpr36_vgpr37
                                        ; implicit-def: $vgpr48_vgpr49
	s_and_saveexec_b64 s[4:5], vcc
	s_xor_b64 s[16:17], exec, s[4:5]
	s_cbranch_execz .LBB0_31
; %bb.6:
	s_mov_b32 s4, 0
	s_mov_b32 s5, 0x40240000
	v_cmp_ngt_f64_e32 vcc, s[4:5], v[50:51]
	;; [unrolled: 17-line block ×6, first 2 shown]
                                        ; implicit-def: $vgpr38_vgpr39
                                        ; implicit-def: $vgpr58_vgpr59
                                        ; implicit-def: $vgpr56_vgpr57
                                        ; implicit-def: $vgpr46_vgpr47
                                        ; implicit-def: $vgpr44_vgpr45
                                        ; implicit-def: $vgpr41_vgpr42
                                        ; implicit-def: $vgpr54_vgpr55
                                        ; implicit-def: $vgpr52_vgpr53
                                        ; implicit-def: $vgpr36_vgpr37
                                        ; implicit-def: $vgpr48_vgpr49
	s_and_saveexec_b64 s[4:5], vcc
	s_xor_b64 s[26:27], exec, s[4:5]
	s_cbranch_execz .LBB0_16
; %bb.11:
	s_mov_b32 s4, 0x54442d15
	s_mov_b32 s5, 0x3fe921fb
	v_div_scale_f64 v[2:3], s[28:29], v[50:51], v[50:51], s[4:5]
	v_mov_b32_e32 v11, 0x100
                                        ; implicit-def: $vgpr38_vgpr39
                                        ; implicit-def: $vgpr58_vgpr59
                                        ; implicit-def: $vgpr56_vgpr57
                                        ; implicit-def: $vgpr46_vgpr47
                                        ; implicit-def: $vgpr44_vgpr45
                                        ; implicit-def: $vgpr41_vgpr42
                                        ; implicit-def: $vgpr54_vgpr55
                                        ; implicit-def: $vgpr52_vgpr53
                                        ; implicit-def: $vgpr36_vgpr37
                                        ; implicit-def: $vgpr48_vgpr49
	v_rcp_f64_e32 v[16:17], v[2:3]
	v_fma_f64 v[30:31], -v[2:3], v[16:17], 1.0
	v_fma_f64 v[16:17], v[16:17], v[30:31], v[16:17]
	v_div_scale_f64 v[30:31], vcc, s[4:5], v[50:51], s[4:5]
	v_fma_f64 v[32:33], -v[2:3], v[16:17], 1.0
	v_fma_f64 v[16:17], v[16:17], v[32:33], v[16:17]
	v_mul_f64 v[32:33], v[30:31], v[16:17]
	v_fma_f64 v[2:3], -v[2:3], v[32:33], v[30:31]
	v_div_fmas_f64 v[2:3], v[2:3], v[16:17], v[32:33]
	v_div_fixup_f64 v[2:3], v[2:3], v[50:51], s[4:5]
	s_mov_b32 s4, 0
	s_brev_b32 s5, 8
	v_cmp_gt_f64_e32 vcc, s[4:5], v[2:3]
	s_mov_b32 s4, 0
	s_mov_b32 s5, 0x404d8000
	v_cmp_ngt_f64_e64 s[4:5], s[4:5], v[50:51]
	v_cndmask_b32_e32 v11, 0, v11, vcc
	v_ldexp_f64 v[2:3], v[2:3], v11
	v_mov_b32_e32 v11, 0xffffff80
	v_cndmask_b32_e32 v11, 0, v11, vcc
	v_rsq_f64_e32 v[16:17], v[2:3]
	v_mul_f64 v[30:31], v[2:3], v[16:17]
	v_mul_f64 v[16:17], v[16:17], 0.5
	v_fma_f64 v[32:33], -v[16:17], v[30:31], 0.5
	v_fma_f64 v[30:31], v[30:31], v[32:33], v[30:31]
	v_fma_f64 v[16:17], v[16:17], v[32:33], v[16:17]
	v_fma_f64 v[32:33], -v[30:31], v[30:31], v[2:3]
	v_fma_f64 v[30:31], v[32:33], v[16:17], v[30:31]
	v_fma_f64 v[32:33], -v[30:31], v[30:31], v[2:3]
	v_fma_f64 v[16:17], v[32:33], v[16:17], v[30:31]
	v_mov_b32_e32 v30, 0x260
	v_cmp_class_f64_e32 vcc, v[2:3], v30
	v_ldexp_f64 v[16:17], v[16:17], v11
	v_cndmask_b32_e32 v1, v17, v3, vcc
	v_cndmask_b32_e32 v0, v16, v2, vcc
	s_and_saveexec_b64 s[28:29], s[4:5]
	s_xor_b64 s[4:5], exec, s[28:29]
	s_cbranch_execz .LBB0_13
; %bb.12:
	s_mov_b32 s29, 0xbfbe19cf
	s_mov_b32 s28, 0x34ee1a66
	v_add_f64 v[2:3], v[50:51], s[28:29]
	s_mov_b32 s29, 0x3fbe19cf
	s_mov_b32 s45, 0x3fd15787
	;; [unrolled: 1-line block ×3, first 2 shown]
	v_mul_f64 v[44:45], v[0:1], s[44:45]
	s_mov_b32 s45, 0xbfd15787
	s_mov_b32 s43, 0x3f58d728
	;; [unrolled: 1-line block ×3, first 2 shown]
	v_div_scale_f64 v[16:17], s[40:41], v[2:3], v[2:3], s[28:29]
	v_mul_f64 v[56:57], v[0:1], s[42:43]
	s_mov_b32 s43, 0xbf58d728
	v_rcp_f64_e32 v[30:31], v[16:17]
	v_fma_f64 v[32:33], -v[16:17], v[30:31], 1.0
	v_fma_f64 v[30:31], v[30:31], v[32:33], v[30:31]
	v_fma_f64 v[32:33], -v[16:17], v[30:31], 1.0
	v_fma_f64 v[30:31], v[30:31], v[32:33], v[30:31]
	v_div_scale_f64 v[32:33], vcc, s[28:29], v[2:3], s[28:29]
	v_mul_f64 v[34:35], v[32:33], v[30:31]
	v_fma_f64 v[16:17], -v[16:17], v[34:35], v[32:33]
	s_nop 1
	v_div_fmas_f64 v[16:17], v[16:17], v[30:31], v[34:35]
	v_div_fixup_f64 v[38:39], v[16:17], v[2:3], s[28:29]
	s_mov_b32 s29, 0xbff13167
	s_mov_b32 s28, 0xefcf0c01
	v_add_f64 v[2:3], v[50:51], s[28:29]
	s_mov_b32 s29, 0x3ff13167
	v_div_scale_f64 v[16:17], s[40:41], v[2:3], v[2:3], s[28:29]
	v_rcp_f64_e32 v[30:31], v[16:17]
	v_fma_f64 v[32:33], -v[16:17], v[30:31], 1.0
	v_fma_f64 v[30:31], v[30:31], v[32:33], v[30:31]
	v_fma_f64 v[32:33], -v[16:17], v[30:31], 1.0
	v_fma_f64 v[30:31], v[30:31], v[32:33], v[30:31]
	v_div_scale_f64 v[32:33], vcc, s[28:29], v[2:3], s[28:29]
	v_mul_f64 v[34:35], v[32:33], v[30:31]
	v_fma_f64 v[16:17], -v[16:17], v[34:35], v[32:33]
	s_nop 1
	v_div_fmas_f64 v[16:17], v[16:17], v[30:31], v[34:35]
	v_div_fixup_f64 v[48:49], v[16:17], v[2:3], s[28:29]
	s_mov_b32 s29, 0xc008afff
	s_mov_b32 s28, 0xf872263f
	v_add_f64 v[2:3], v[50:51], s[28:29]
	s_mov_b32 s29, 0x4008afff
	v_div_scale_f64 v[16:17], s[40:41], v[2:3], v[2:3], s[28:29]
	;; [unrolled: 16-line block ×3, first 2 shown]
	v_rcp_f64_e32 v[30:31], v[16:17]
	v_fma_f64 v[32:33], -v[16:17], v[30:31], 1.0
	v_fma_f64 v[30:31], v[30:31], v[32:33], v[30:31]
	v_fma_f64 v[32:33], -v[16:17], v[30:31], 1.0
	v_fma_f64 v[30:31], v[30:31], v[32:33], v[30:31]
	v_div_scale_f64 v[32:33], vcc, s[28:29], v[2:3], s[28:29]
	v_mul_f64 v[34:35], v[32:33], v[30:31]
	v_fma_f64 v[16:17], -v[16:17], v[34:35], v[32:33]
	s_nop 1
	v_div_fmas_f64 v[16:17], v[16:17], v[30:31], v[34:35]
	v_div_fixup_f64 v[52:53], v[16:17], v[2:3], s[28:29]
	s_mov_b32 s29, 0xc0279d47
	s_mov_b32 s28, 0xf0da34ed
	v_add_f64 v[2:3], v[50:51], s[28:29]
	s_mov_b32 s29, 0x40279d47
                                        ; implicit-def: $vgpr50_vgpr51
	v_div_scale_f64 v[16:17], s[40:41], v[2:3], v[2:3], s[28:29]
	s_mov_b32 s41, 0x3fa391fc
	s_mov_b32 s40, 0x74e7187a
	v_mul_f64 v[46:47], v[0:1], s[40:41]
	s_mov_b32 s41, 0xbfa391fc
	v_rcp_f64_e32 v[30:31], v[16:17]
	v_fma_f64 v[32:33], -v[16:17], v[30:31], 1.0
	v_fma_f64 v[30:31], v[30:31], v[32:33], v[30:31]
	v_fma_f64 v[32:33], -v[16:17], v[30:31], 1.0
	v_fma_f64 v[30:31], v[30:31], v[32:33], v[30:31]
	v_div_scale_f64 v[32:33], vcc, s[28:29], v[2:3], s[28:29]
	v_mul_f64 v[34:35], v[32:33], v[30:31]
	v_fma_f64 v[16:17], -v[16:17], v[34:35], v[32:33]
	s_nop 1
	v_div_fmas_f64 v[16:17], v[16:17], v[30:31], v[34:35]
	v_div_fixup_f64 v[54:55], v[16:17], v[2:3], s[28:29]
	v_fma_f64 v[2:3], v[0:1], s[44:45], v[0:1]
	s_mov_b32 s29, 0x3ee21487
	s_mov_b32 s28, 0x2c35b4c1
	v_mul_f64 v[58:59], v[0:1], s[28:29]
	s_mov_b32 s29, 0xbee21487
	v_fma_f64 v[2:3], v[0:1], s[40:41], v[2:3]
	v_fma_f64 v[2:3], v[0:1], s[42:43], v[2:3]
	;; [unrolled: 1-line block ×3, first 2 shown]
                                        ; implicit-def: $vgpr0_vgpr1
.LBB0_13:
	s_andn2_saveexec_b64 s[28:29], s[4:5]
	s_cbranch_execz .LBB0_15
; %bb.14:
	v_cmp_eq_f64_e32 vcc, 1.0, v[50:51]
	v_mov_b32_e32 v2, 0x40080000
	v_mov_b32_e32 v3, 0x3ff00000
	s_mov_b32 s5, 0x3fe55555
	s_mov_b32 s4, 0x55555555
	;; [unrolled: 1-line block ×4, first 2 shown]
	v_frexp_exp_i32_f64_e32 v11, v[50:51]
	v_cndmask_b32_e32 v45, v2, v3, vcc
	v_frexp_mant_f64_e32 v[2:3], v[50:51]
	s_mov_b32 s43, 0x3c7abc9e
	s_mov_b32 s42, 0x3b39803f
	v_mov_b32_e32 v44, 0
	s_movk_i32 s88, 0x204
	s_mov_b32 s45, 0x3ff71547
	s_mov_b32 s44, 0x652b82fe
	;; [unrolled: 1-line block ×3, first 2 shown]
	v_cmp_gt_f64_e32 vcc, s[4:5], v[2:3]
	s_mov_b32 s47, 0x3e5ade15
	s_mov_b32 s56, 0x623fde64
	;; [unrolled: 1-line block ×7, first 2 shown]
	v_cndmask_b32_e64 v16, 0, 1, vcc
	v_ldexp_f64 v[2:3], v[2:3], v16
	v_subbrev_co_u32_e32 v11, vcc, 0, v11, vcc
	s_mov_b32 s62, 0x1852b7b0
	s_mov_b32 s63, 0x3f56c16c
	;; [unrolled: 1-line block ×5, first 2 shown]
	v_add_f64 v[30:31], v[2:3], 1.0
	v_add_f64 v[16:17], v[2:3], -1.0
	s_mov_b32 s75, 0x3fa55555
	s_mov_b32 s76, 0x55555511
	;; [unrolled: 1-line block ×5, first 2 shown]
	v_add_f64 v[32:33], v[30:31], -1.0
	v_add_f64 v[2:3], v[2:3], -v[32:33]
	v_rcp_f64_e32 v[32:33], v[30:31]
	v_fma_f64 v[34:35], -v[30:31], v[32:33], 1.0
	v_fma_f64 v[32:33], v[34:35], v[32:33], v[32:33]
	v_fma_f64 v[34:35], -v[30:31], v[32:33], 1.0
	v_fma_f64 v[32:33], v[34:35], v[32:33], v[32:33]
	v_mul_f64 v[34:35], v[16:17], v[32:33]
	v_mul_f64 v[36:37], v[30:31], v[34:35]
	v_fma_f64 v[30:31], v[34:35], v[30:31], -v[36:37]
	v_fma_f64 v[2:3], v[34:35], v[2:3], v[30:31]
	v_add_f64 v[30:31], v[36:37], v[2:3]
	v_add_f64 v[38:39], v[16:17], -v[30:31]
	v_add_f64 v[36:37], v[30:31], -v[36:37]
	v_add_f64 v[16:17], v[16:17], -v[38:39]
	v_add_f64 v[2:3], v[36:37], -v[2:3]
	v_add_f64 v[16:17], v[16:17], -v[30:31]
	v_add_f64 v[2:3], v[2:3], v[16:17]
	v_add_f64 v[2:3], v[38:39], v[2:3]
	v_mul_f64 v[2:3], v[32:33], v[2:3]
	v_add_f64 v[16:17], v[34:35], v[2:3]
	v_add_f64 v[30:31], v[16:17], -v[34:35]
	v_ldexp_f64 v[46:47], v[16:17], 1
	v_add_f64 v[2:3], v[2:3], -v[30:31]
	v_mul_f64 v[30:31], v[16:17], v[16:17]
	v_add_f64 v[34:35], v[2:3], v[2:3]
	v_fma_f64 v[32:33], v[16:17], v[16:17], -v[30:31]
	v_fma_f64 v[32:33], v[16:17], v[34:35], v[32:33]
	v_add_f64 v[56:57], v[30:31], v[32:33]
	v_add_f64 v[30:31], v[56:57], -v[30:31]
	v_add_f64 v[58:59], v[32:33], -v[30:31]
	v_mov_b32_e32 v30, 0x968915a9
	v_mov_b32_e32 v31, 0x3fba6564
	v_fma_f64 v[30:31], v[56:57], s[40:41], v[30:31]
	s_mov_b32 s40, 0x3abe935a
	s_mov_b32 s41, 0x3fbe25e4
	v_cvt_f64_i32_e32 v[32:33], v11
	v_fma_f64 v[30:31], v[56:57], v[30:31], s[40:41]
	s_mov_b32 s40, 0x47e6c9c2
	s_mov_b32 s41, 0x3fc110ef
	v_fma_f64 v[30:31], v[56:57], v[30:31], s[40:41]
	s_mov_b32 s40, 0xcfa74449
	s_mov_b32 s41, 0x3fc3b13b
	v_fma_f64 v[30:31], v[56:57], v[30:31], s[40:41]
	s_mov_b32 s40, 0x71bf3c30
	s_mov_b32 s41, 0x3fc745d1
	v_fma_f64 v[30:31], v[56:57], v[30:31], s[40:41]
	s_mov_b32 s40, 0x1c7792ce
	s_mov_b32 s41, 0x3fcc71c7
	v_fma_f64 v[30:31], v[56:57], v[30:31], s[40:41]
	s_mov_b32 s40, 0x924920da
	s_mov_b32 s41, 0x3fd24924
	v_fma_f64 v[30:31], v[56:57], v[30:31], s[40:41]
	s_mov_b32 s40, 0x9999999c
	s_mov_b32 s41, 0x3fd99999
	v_fma_f64 v[30:31], v[56:57], v[30:31], s[40:41]
	s_mov_b32 s41, 0x3fe62e42
	s_mov_b32 s40, 0xfefa39ef
	v_mul_f64 v[34:35], v[32:33], s[40:41]
	v_fma_f64 v[36:37], v[32:33], s[40:41], -v[34:35]
	s_mov_b32 s41, 0xbfe62e42
	v_fma_f64 v[32:33], v[32:33], s[42:43], v[36:37]
	v_ldexp_f64 v[36:37], v[2:3], 1
	s_mov_b32 s43, 0xbc7abc9e
	v_add_f64 v[41:42], v[34:35], v[32:33]
	v_add_f64 v[34:35], v[41:42], -v[34:35]
	v_add_f64 v[54:55], v[32:33], -v[34:35]
	v_mul_f64 v[32:33], v[16:17], v[56:57]
	v_fma_f64 v[34:35], v[56:57], v[16:17], -v[32:33]
	v_fma_f64 v[2:3], v[56:57], v[2:3], v[34:35]
	v_fma_f64 v[2:3], v[58:59], v[16:17], v[2:3]
	v_add_f64 v[52:53], v[32:33], v[2:3]
	v_add_f64 v[16:17], v[52:53], -v[32:33]
	v_add_f64 v[34:35], v[2:3], -v[16:17]
	v_mul_f64 v[2:3], v[56:57], v[30:31]
	v_fma_f64 v[16:17], v[56:57], v[30:31], -v[2:3]
	v_fma_f64 v[16:17], v[58:59], v[30:31], v[16:17]
	v_add_f64 v[30:31], v[2:3], v[16:17]
	v_add_f64 v[2:3], v[30:31], -v[2:3]
	v_add_f64 v[2:3], v[16:17], -v[2:3]
	v_add_f64 v[16:17], v[30:31], s[4:5]
	s_mov_b32 s5, 0xbfe55555
	v_add_f64 v[32:33], v[16:17], s[4:5]
	s_mov_b32 s4, 0xd5df274d
	s_mov_b32 s5, 0x3c8543b0
	v_add_f64 v[2:3], v[2:3], s[4:5]
	s_mov_b32 s4, 0
	s_mov_b32 s5, 0x7ff00000
	v_add_f64 v[30:31], v[30:31], -v[32:33]
	v_add_f64 v[2:3], v[2:3], v[30:31]
	v_add_f64 v[30:31], v[16:17], v[2:3]
	v_add_f64 v[16:17], v[16:17], -v[30:31]
	v_add_f64 v[2:3], v[2:3], v[16:17]
	v_mul_f64 v[16:17], v[52:53], v[30:31]
	v_fma_f64 v[32:33], v[52:53], v[30:31], -v[16:17]
	v_fma_f64 v[2:3], v[52:53], v[2:3], v[32:33]
	v_fma_f64 v[2:3], v[34:35], v[30:31], v[2:3]
	v_add_f64 v[30:31], v[16:17], v[2:3]
	v_add_f64 v[16:17], v[30:31], -v[16:17]
	v_add_f64 v[2:3], v[2:3], -v[16:17]
	v_add_f64 v[16:17], v[46:47], v[30:31]
	v_add_f64 v[2:3], v[36:37], v[2:3]
	v_add_f64 v[32:33], v[16:17], -v[46:47]
	v_add_f64 v[30:31], v[30:31], -v[32:33]
	v_add_f64 v[2:3], v[2:3], v[30:31]
	;; [unrolled: 4-line block ×3, first 2 shown]
	v_add_f64 v[32:33], v[16:17], -v[41:42]
	v_add_f64 v[34:35], v[16:17], -v[32:33]
	;; [unrolled: 1-line block ×3, first 2 shown]
	v_add_f64 v[32:33], v[54:55], v[2:3]
	v_add_f64 v[34:35], v[41:42], -v[34:35]
	v_add_f64 v[30:31], v[30:31], v[34:35]
	v_add_f64 v[34:35], v[32:33], -v[54:55]
	;; [unrolled: 2-line block ×3, first 2 shown]
	v_add_f64 v[2:3], v[2:3], -v[34:35]
	v_add_f64 v[32:33], v[16:17], v[30:31]
	v_add_f64 v[36:37], v[54:55], -v[36:37]
	v_add_f64 v[16:17], v[32:33], -v[16:17]
	v_add_f64 v[2:3], v[2:3], v[36:37]
	v_add_f64 v[16:17], v[30:31], -v[16:17]
	v_add_f64 v[2:3], v[2:3], v[16:17]
	v_add_f64 v[16:17], v[32:33], v[2:3]
	v_add_f64 v[30:31], v[16:17], -v[32:33]
	v_add_f64 v[2:3], v[2:3], -v[30:31]
	v_mul_f64 v[30:31], v[44:45], v[16:17]
	v_fma_f64 v[16:17], v[44:45], v[16:17], -v[30:31]
	v_cmp_class_f64_e64 vcc, v[30:31], s88
	v_fma_f64 v[2:3], v[44:45], v[2:3], v[16:17]
	v_add_f64 v[16:17], v[30:31], v[2:3]
	v_add_f64 v[32:33], v[16:17], -v[30:31]
	v_cndmask_b32_e32 v17, v17, v31, vcc
	v_cndmask_b32_e32 v16, v16, v30, vcc
	v_mul_f64 v[30:31], v[16:17], s[44:45]
	v_cmp_neq_f64_e64 vcc, |v[16:17]|, s[4:5]
	s_mov_b32 s4, 0xfca7ab0c
	s_mov_b32 s5, 0x3e928af3
	v_mov_b32_e32 v35, s5
	v_add_f64 v[2:3], v[2:3], -v[32:33]
	v_mov_b32_e32 v34, s4
	s_mov_b32 s4, 0
	v_rndne_f64_e32 v[30:31], v[30:31]
	s_mov_b32 s5, 0x40900000
	s_mov_b32 s45, 0xbff71547
	v_cndmask_b32_e32 v3, 0, v3, vcc
	v_cndmask_b32_e32 v2, 0, v2, vcc
	v_cmp_nlt_f64_e32 vcc, s[4:5], v[16:17]
	v_fma_f64 v[32:33], v[30:31], s[40:41], v[16:17]
	v_cvt_i32_f64_e32 v11, v[30:31]
	s_mov_b32 s4, 0
	s_mov_b32 s5, 0xc090cc00
	v_cmp_ngt_f64_e64 s[4:5], s[4:5], v[16:17]
	v_fma_f64 v[32:33], v[30:31], s[42:43], v[32:33]
	v_fma_f64 v[36:37], v[32:33], s[46:47], v[34:35]
	;; [unrolled: 1-line block ×10, first 2 shown]
	v_fma_f64 v[36:37], v[32:33], v[36:37], 1.0
	v_fma_f64 v[32:33], v[32:33], v[36:37], 1.0
	v_ldexp_f64 v[30:31], v[32:33], v11
	v_mov_b32_e32 v11, 0x7ff00000
	v_cndmask_b32_e32 v11, v11, v31, vcc
	s_and_b64 vcc, s[4:5], vcc
	v_cndmask_b32_e32 v16, 0, v30, vcc
	v_cndmask_b32_e64 v17, 0, v11, s[4:5]
	v_fma_f64 v[2:3], v[16:17], v[2:3], v[16:17]
	v_cmp_class_f64_e64 vcc, v[16:17], s88
	s_mov_b32 s4, 0xcaeb734b
	s_mov_b32 s5, 0xbf98f5fb
	v_cndmask_b32_e32 v42, v3, v17, vcc
	v_cndmask_b32_e32 v41, v2, v16, vcc
	v_mul_f64 v[2:3], v[50:51], s[44:45]
	v_rndne_f64_e32 v[2:3], v[2:3]
	v_fma_f64 v[16:17], v[2:3], s[40:41], -v[50:51]
	v_fma_f64 v[16:17], v[2:3], s[42:43], v[16:17]
	v_cvt_i32_f64_e32 v2, v[2:3]
	v_fma_f64 v[30:31], v[16:17], s[46:47], v[34:35]
	v_readlane_b32 s46, v61, 0
	v_readlane_b32 s47, v61, 1
	v_fma_f64 v[30:31], v[16:17], v[30:31], s[56:57]
	v_fma_f64 v[30:31], v[16:17], v[30:31], s[58:59]
	;; [unrolled: 1-line block ×8, first 2 shown]
	v_fma_f64 v[30:31], v[16:17], v[30:31], 1.0
	v_fma_f64 v[16:17], v[16:17], v[30:31], 1.0
	v_ldexp_f64 v[2:3], v[16:17], v2
	v_mul_f64 v[44:45], v[2:3], |v[41:42]|
	v_mov_b32_e32 v2, 0x3eaa0c05
	v_mov_b32_e32 v3, 0x40009589
	v_fma_f64 v[2:3], v[50:51], s[4:5], v[2:3]
	s_mov_b32 s4, 0xc96ff243
	s_mov_b32 s5, 0xc050262b
	v_mul_f64 v[41:42], |v[41:42]|, v[44:45]
	v_fma_f64 v[2:3], v[50:51], v[2:3], s[4:5]
	s_mov_b32 s4, 0xdc8f9da2
	s_mov_b32 s5, 0x40865147
	v_fma_f64 v[52:53], v[50:51], v[2:3], s[4:5]
	s_mov_b32 s5, 0xbfbe19cf
	s_mov_b32 s4, 0x34ee1a66
	v_add_f64 v[2:3], v[50:51], s[4:5]
	s_mov_b32 s5, 0x3fbe19cf
	v_div_scale_f64 v[16:17], s[40:41], v[2:3], v[2:3], s[4:5]
	v_rcp_f64_e32 v[30:31], v[16:17]
	v_fma_f64 v[32:33], -v[16:17], v[30:31], 1.0
	v_fma_f64 v[30:31], v[30:31], v[32:33], v[30:31]
	v_fma_f64 v[32:33], -v[16:17], v[30:31], 1.0
	v_fma_f64 v[30:31], v[30:31], v[32:33], v[30:31]
	v_div_scale_f64 v[32:33], vcc, s[4:5], v[2:3], s[4:5]
	v_mul_f64 v[34:35], v[32:33], v[30:31]
	v_fma_f64 v[16:17], -v[16:17], v[34:35], v[32:33]
	s_nop 1
	v_div_fmas_f64 v[16:17], v[16:17], v[30:31], v[34:35]
	v_div_fixup_f64 v[2:3], v[16:17], v[2:3], s[4:5]
	s_mov_b32 s4, 0x3ae66c31
	s_mov_b32 s5, 0xbfcd4b59
	v_fma_f64 v[38:39], v[52:53], v[44:45], v[2:3]
	v_mov_b32_e32 v2, 0x2077fa57
	v_mov_b32_e32 v3, 0x403351af
	v_fma_f64 v[2:3], v[50:51], s[4:5], v[2:3]
	s_mov_b32 s4, 0xa5d22b7d
	s_mov_b32 s5, 0xc082be32
	v_fma_f64 v[2:3], v[50:51], v[2:3], s[4:5]
	s_mov_b32 s4, 0x102c9863
	s_mov_b32 s5, 0x40b9da71
	v_fma_f64 v[2:3], v[50:51], v[2:3], s[4:5]
	s_mov_b32 s5, 0xbff13167
	s_mov_b32 s4, 0xefcf0c01
	v_add_f64 v[16:17], v[50:51], s[4:5]
	s_mov_b32 s5, 0x3ff13167
	v_div_scale_f64 v[30:31], s[40:41], v[16:17], v[16:17], s[4:5]
	v_rcp_f64_e32 v[32:33], v[30:31]
	v_fma_f64 v[34:35], -v[30:31], v[32:33], 1.0
	v_fma_f64 v[32:33], v[32:33], v[34:35], v[32:33]
	v_fma_f64 v[34:35], -v[30:31], v[32:33], 1.0
	v_fma_f64 v[32:33], v[32:33], v[34:35], v[32:33]
	v_div_scale_f64 v[34:35], vcc, s[4:5], v[16:17], s[4:5]
	v_mul_f64 v[36:37], v[34:35], v[32:33]
	v_fma_f64 v[30:31], -v[30:31], v[36:37], v[34:35]
	s_nop 1
	v_div_fmas_f64 v[30:31], v[30:31], v[32:33], v[36:37]
	v_div_fixup_f64 v[16:17], v[30:31], v[16:17], s[4:5]
	s_mov_b32 s4, 0xdf16f1a0
	s_mov_b32 s5, 0xbfe63ddf
	v_fma_f64 v[48:49], v[2:3], v[44:45], v[16:17]
	v_mov_b32_e32 v2, 0x4e6da19
	v_mov_b32_e32 v3, 0x404cd7fd
	v_fma_f64 v[2:3], v[50:51], s[4:5], v[2:3]
	s_mov_b32 s4, 0x6d379456
	s_mov_b32 s5, 0xc09bc42a
	v_fma_f64 v[2:3], v[50:51], v[2:3], s[4:5]
	s_mov_b32 s4, 0xee4d3bca
	s_mov_b32 s5, 0x40d31426
	v_fma_f64 v[52:53], v[50:51], v[2:3], s[4:5]
	s_mov_b32 s5, 0xc008afff
	s_mov_b32 s4, 0xf872263f
	v_add_f64 v[2:3], v[50:51], s[4:5]
	s_mov_b32 s5, 0x4008afff
	v_div_scale_f64 v[16:17], s[40:41], v[2:3], v[2:3], s[4:5]
	v_rcp_f64_e32 v[30:31], v[16:17]
	v_fma_f64 v[32:33], -v[16:17], v[30:31], 1.0
	v_fma_f64 v[30:31], v[30:31], v[32:33], v[30:31]
	v_fma_f64 v[32:33], -v[16:17], v[30:31], 1.0
	v_fma_f64 v[30:31], v[30:31], v[32:33], v[30:31]
	v_div_scale_f64 v[32:33], vcc, s[4:5], v[2:3], s[4:5]
	v_mul_f64 v[34:35], v[32:33], v[30:31]
	v_fma_f64 v[16:17], -v[16:17], v[34:35], v[32:33]
	s_nop 1
	v_div_fmas_f64 v[16:17], v[16:17], v[30:31], v[34:35]
	v_div_fixup_f64 v[2:3], v[16:17], v[2:3], s[4:5]
	s_mov_b32 s4, 0x89e27eba
	s_mov_b32 s5, 0xbff94aa9
	v_fma_f64 v[36:37], v[52:53], v[44:45], v[2:3]
	v_mov_b32_e32 v2, 0x53392123
	v_mov_b32_e32 v3, 0x405fc340
	v_fma_f64 v[2:3], v[50:51], s[4:5], v[2:3]
	s_mov_b32 s4, 0x3c97222a
	s_mov_b32 s5, 0xc0ae35bf
	v_fma_f64 v[2:3], v[50:51], v[2:3], s[4:5]
	s_mov_b32 s4, 0x73327300
	s_mov_b32 s5, 0x40e4a7cf
	v_fma_f64 v[52:53], v[50:51], v[2:3], s[4:5]
	s_mov_b32 s5, 0xc019a8ae
	s_mov_b32 s4, 0xe94b0762
	v_add_f64 v[2:3], v[50:51], s[4:5]
	s_mov_b32 s5, 0x4019a8ae
	v_div_scale_f64 v[16:17], s[40:41], v[2:3], v[2:3], s[4:5]
	v_rcp_f64_e32 v[30:31], v[16:17]
	v_fma_f64 v[32:33], -v[16:17], v[30:31], 1.0
	v_fma_f64 v[30:31], v[30:31], v[32:33], v[30:31]
	v_fma_f64 v[32:33], -v[16:17], v[30:31], 1.0
	v_fma_f64 v[30:31], v[30:31], v[32:33], v[30:31]
	v_div_scale_f64 v[32:33], vcc, s[4:5], v[2:3], s[4:5]
	v_mul_f64 v[34:35], v[32:33], v[30:31]
	v_fma_f64 v[16:17], -v[16:17], v[34:35], v[32:33]
	s_nop 1
	v_div_fmas_f64 v[16:17], v[16:17], v[30:31], v[34:35]
	v_div_fixup_f64 v[2:3], v[16:17], v[2:3], s[4:5]
	s_mov_b32 s4, 0x49830b99
	s_mov_b32 s5, 0xc00ab794
	v_fma_f64 v[52:53], v[52:53], v[44:45], v[2:3]
	v_mov_b32_e32 v2, 0xd69c7571
	v_mov_b32_e32 v3, 0x406f7a92
	v_fma_f64 v[2:3], v[50:51], s[4:5], v[2:3]
	s_mov_b32 s4, 0x7e24ae4
	s_mov_b32 s5, 0xc0bd9949
	v_fma_f64 v[2:3], v[50:51], v[2:3], s[4:5]
	s_mov_b32 s4, 0xe813dd3e
	s_mov_b32 s5, 0x40f4114a
	v_fma_f64 v[54:55], v[50:51], v[2:3], s[4:5]
	s_mov_b32 s5, 0xc0279d47
	s_mov_b32 s4, 0xf0da34ed
	v_add_f64 v[46:47], v[50:51], s[4:5]
	s_mov_b32 s5, 0x40279d47
	v_div_scale_f64 v[56:57], s[40:41], v[46:47], v[46:47], s[4:5]
	v_rcp_f64_e32 v[2:3], v[56:57]
	v_fma_f64 v[16:17], -v[56:57], v[2:3], 1.0
	v_fma_f64 v[2:3], v[2:3], v[16:17], v[2:3]
	v_fma_f64 v[16:17], -v[56:57], v[2:3], 1.0
	v_fma_f64 v[2:3], v[2:3], v[16:17], v[2:3]
	v_div_scale_f64 v[16:17], vcc, s[4:5], v[46:47], s[4:5]
	v_mul_f64 v[30:31], v[16:17], v[2:3]
	v_fma_f64 v[16:17], -v[56:57], v[30:31], v[16:17]
	s_nop 1
	v_div_fmas_f64 v[2:3], v[16:17], v[2:3], v[30:31]
	v_div_fixup_f64 v[2:3], v[2:3], v[46:47], s[4:5]
	s_mov_b32 s4, 0xb2d9f96a
	s_mov_b32 s5, 0x3e4d1839
	v_fma_f64 v[54:55], v[54:55], v[44:45], v[2:3]
	v_mov_b32_e32 v2, 0x79905db7
	v_mov_b32_e32 v3, 0xbe95fe39
	v_fma_f64 v[2:3], v[50:51], s[4:5], v[2:3]
	s_mov_b32 s4, 0x1af920fa
	s_mov_b32 s5, 0x3ec442a9
	v_fma_f64 v[2:3], v[50:51], v[2:3], s[4:5]
	s_mov_b32 s4, 0x2c35b4c1
	s_mov_b32 s5, 0x3ee21487
	v_mul_f64 v[2:3], v[2:3], v[41:42]
	v_fma_f64 v[58:59], v[0:1], s[4:5], v[2:3]
	s_mov_b32 s4, 0xcf07aea
	v_mov_b32_e32 v2, 0x4f1d383e
	v_mov_b32_e32 v3, 0xbf029fbe
	s_mov_b32 s5, 0x3eb4b6be
	v_fma_f64 v[2:3], v[50:51], s[4:5], v[2:3]
	s_mov_b32 s4, 0xc17d817a
	s_mov_b32 s5, 0x3f33e01a
	v_fma_f64 v[2:3], v[50:51], v[2:3], s[4:5]
	s_mov_b32 s4, 0xef7a4729
	s_mov_b32 s5, 0x3f58d728
	v_mul_f64 v[2:3], v[2:3], v[41:42]
	v_fma_f64 v[56:57], v[0:1], s[4:5], v[2:3]
	s_mov_b32 s4, 0xa8b0034c
	v_mov_b32_e32 v2, 0xd6e11677
	v_mov_b32_e32 v3, 0xbf3b7c31
	s_mov_b32 s5, 0x3eec377c
	v_fma_f64 v[2:3], v[50:51], s[4:5], v[2:3]
	s_mov_b32 s4, 0x6dfe45c6
	s_mov_b32 s5, 0x3f6fc2cc
	;; [unrolled: 12-line block ×3, first 2 shown]
	v_fma_f64 v[2:3], v[50:51], v[44:45], s[4:5]
	s_mov_b32 s4, 0xacb87a1d
	s_mov_b32 s5, 0x3fd15787
	v_mul_f64 v[2:3], v[2:3], v[41:42]
	v_fma_f64 v[44:45], v[0:1], s[4:5], v[2:3]
	v_add_f64 v[2:3], v[0:1], -v[44:45]
	v_add_f64 v[2:3], v[2:3], -v[46:47]
	v_add_f64 v[2:3], v[2:3], -v[56:57]
	v_add_f64 v[41:42], v[2:3], -v[58:59]
.LBB0_15:
	s_or_b64 exec, exec, s[28:29]
                                        ; implicit-def: $vgpr50_vgpr51
.LBB0_16:
	s_andn2_saveexec_b64 s[4:5], s[26:27]
	s_cbranch_execz .LBB0_18
; %bb.17:
	s_mov_b32 s26, 0x54442d15
	s_mov_b32 s27, 0x3fe921fb
	v_div_scale_f64 v[2:3], s[28:29], v[50:51], v[50:51], s[26:27]
	v_mov_b32_e32 v11, 0x100
	v_rcp_f64_e32 v[16:17], v[2:3]
	v_fma_f64 v[30:31], -v[2:3], v[16:17], 1.0
	v_fma_f64 v[16:17], v[16:17], v[30:31], v[16:17]
	v_fma_f64 v[30:31], -v[2:3], v[16:17], 1.0
	v_fma_f64 v[16:17], v[16:17], v[30:31], v[16:17]
	v_div_scale_f64 v[30:31], vcc, s[26:27], v[50:51], s[26:27]
	v_mul_f64 v[32:33], v[30:31], v[16:17]
	v_fma_f64 v[2:3], -v[2:3], v[32:33], v[30:31]
	s_nop 1
	v_div_fmas_f64 v[2:3], v[2:3], v[16:17], v[32:33]
	v_div_fixup_f64 v[2:3], v[2:3], v[50:51], s[26:27]
	s_mov_b32 s26, 0
	s_brev_b32 s27, 8
	v_cmp_gt_f64_e32 vcc, s[26:27], v[2:3]
	s_mov_b32 s26, 0x652b82fe
	s_mov_b32 s27, 0xbff71547
	v_cndmask_b32_e32 v11, 0, v11, vcc
	v_ldexp_f64 v[2:3], v[2:3], v11
	v_mov_b32_e32 v11, 0xffffff80
	v_cndmask_b32_e32 v11, 0, v11, vcc
	v_rsq_f64_e32 v[16:17], v[2:3]
	v_mul_f64 v[30:31], v[2:3], v[16:17]
	v_mul_f64 v[16:17], v[16:17], 0.5
	v_fma_f64 v[32:33], -v[16:17], v[30:31], 0.5
	v_fma_f64 v[30:31], v[30:31], v[32:33], v[30:31]
	v_fma_f64 v[16:17], v[16:17], v[32:33], v[16:17]
	v_fma_f64 v[34:35], -v[30:31], v[30:31], v[2:3]
	v_fma_f64 v[30:31], v[34:35], v[16:17], v[30:31]
	v_fma_f64 v[32:33], -v[30:31], v[30:31], v[2:3]
	v_fma_f64 v[16:17], v[32:33], v[16:17], v[30:31]
	v_mov_b32_e32 v30, 0xfca7ab0c
	v_mov_b32_e32 v31, 0x3e928af3
	v_ldexp_f64 v[16:17], v[16:17], v11
	v_mov_b32_e32 v11, 0x260
	v_cmp_class_f64_e32 vcc, v[2:3], v11
	v_cndmask_b32_e32 v1, v17, v3, vcc
	v_cndmask_b32_e32 v0, v16, v2, vcc
	v_mul_f64 v[2:3], v[50:51], s[26:27]
	s_mov_b32 s26, 0xfefa39ef
	s_mov_b32 s27, 0xbfe62e42
	v_rndne_f64_e32 v[2:3], v[2:3]
	v_fma_f64 v[16:17], v[2:3], s[26:27], -v[50:51]
	s_mov_b32 s26, 0x3b39803f
	s_mov_b32 s27, 0xbc7abc9e
	v_fma_f64 v[16:17], v[2:3], s[26:27], v[16:17]
	s_mov_b32 s26, 0x6a5dcb37
	s_mov_b32 s27, 0x3e5ade15
	v_cvt_i32_f64_e32 v2, v[2:3]
	v_mov_b32_e32 v3, 0x3f1f6fc8
	v_fma_f64 v[30:31], v[16:17], s[26:27], v[30:31]
	s_mov_b32 s26, 0x623fde64
	s_mov_b32 s27, 0x3ec71dee
	v_fma_f64 v[30:31], v[16:17], v[30:31], s[26:27]
	s_mov_b32 s26, 0x7c89e6b0
	s_mov_b32 s27, 0x3efa0199
	;; [unrolled: 3-line block ×9, first 2 shown]
	v_fma_f64 v[30:31], v[16:17], v[30:31], 1.0
	v_fma_f64 v[16:17], v[16:17], v[30:31], 1.0
	v_ldexp_f64 v[41:42], v[16:17], v2
	v_mov_b32_e32 v2, 0xc95a68be
	v_fma_f64 v[2:3], v[50:51], s[26:27], v[2:3]
	s_mov_b32 s26, 0xb75c6a7d
	s_mov_b32 s27, 0xbf90538f
	v_fma_f64 v[2:3], v[50:51], v[2:3], s[26:27]
	s_mov_b32 s26, 0x23a9e0cf
	s_mov_b32 s27, 0x3ff227a5
	v_fma_f64 v[2:3], v[50:51], v[2:3], s[26:27]
	s_mov_b32 s26, 0xe6225023
	s_mov_b32 s27, 0xc0465c5e
	v_fma_f64 v[2:3], v[50:51], v[2:3], s[26:27]
	s_mov_b32 s26, 0x7546e5d8
	s_mov_b32 s27, 0x40909a0c
	v_fma_f64 v[2:3], v[50:51], v[2:3], s[26:27]
	s_mov_b32 s26, 0x247745c1
	s_mov_b32 s27, 0xc0cdb3b2
	v_fma_f64 v[2:3], v[50:51], v[2:3], s[26:27]
	s_mov_b32 s26, 0x319b9717
	s_mov_b32 s27, 0x40fd756e
	v_fma_f64 v[2:3], v[50:51], v[2:3], s[26:27]
	s_mov_b32 s26, 0x77a82cda
	s_mov_b32 s27, 0xc118da49
	v_fma_f64 v[2:3], v[50:51], v[2:3], s[26:27]
	s_mov_b32 s27, 0xbfbe19cf
	s_mov_b32 s26, 0x34ee1a66
	v_add_f64 v[16:17], v[50:51], s[26:27]
	s_mov_b32 s27, 0x3fbe19cf
	v_div_scale_f64 v[30:31], s[28:29], v[16:17], v[16:17], s[26:27]
	v_rcp_f64_e32 v[32:33], v[30:31]
	v_fma_f64 v[34:35], -v[30:31], v[32:33], 1.0
	v_fma_f64 v[32:33], v[32:33], v[34:35], v[32:33]
	v_fma_f64 v[34:35], -v[30:31], v[32:33], 1.0
	v_fma_f64 v[32:33], v[32:33], v[34:35], v[32:33]
	v_div_scale_f64 v[34:35], vcc, s[26:27], v[16:17], s[26:27]
	v_mul_f64 v[36:37], v[34:35], v[32:33]
	v_fma_f64 v[30:31], -v[30:31], v[36:37], v[34:35]
	s_nop 1
	v_div_fmas_f64 v[30:31], v[30:31], v[32:33], v[36:37]
	v_div_fixup_f64 v[16:17], v[30:31], v[16:17], s[26:27]
	s_mov_b32 s26, 0x4b993860
	s_mov_b32 s27, 0xbef0c9b8
	v_fma_f64 v[38:39], v[2:3], v[41:42], v[16:17]
	v_mov_b32_e32 v2, 0xe7ffdbf2
	v_mov_b32_e32 v3, 0x3f5213a0
	v_fma_f64 v[2:3], v[50:51], s[26:27], v[2:3]
	s_mov_b32 s26, 0x77e55c8b
	s_mov_b32 s27, 0xbfc334a1
	v_fma_f64 v[2:3], v[50:51], v[2:3], s[26:27]
	s_mov_b32 s26, 0xc0e94c48
	s_mov_b32 s27, 0x40251cdb
	v_fma_f64 v[2:3], v[50:51], v[2:3], s[26:27]
	s_mov_b32 s26, 0x4647d599
	s_mov_b32 s27, 0xc079a780
	v_fma_f64 v[2:3], v[50:51], v[2:3], s[26:27]
	s_mov_b32 s26, 0xa73371c0
	s_mov_b32 s27, 0x40c2cd05
	v_fma_f64 v[2:3], v[50:51], v[2:3], s[26:27]
	s_mov_b32 s26, 0x8f075ded
	s_mov_b32 s27, 0xc1009680
	v_fma_f64 v[2:3], v[50:51], v[2:3], s[26:27]
	s_mov_b32 s26, 0xc537d8b4
	s_mov_b32 s27, 0x413030d3
	v_fma_f64 v[2:3], v[50:51], v[2:3], s[26:27]
	s_mov_b32 s26, 0xf6cdfc62
	s_mov_b32 s27, 0xc14acb31
	v_fma_f64 v[2:3], v[50:51], v[2:3], s[26:27]
	s_mov_b32 s27, 0xbff13167
	s_mov_b32 s26, 0xefcf0c01
	v_add_f64 v[16:17], v[50:51], s[26:27]
	s_mov_b32 s27, 0x3ff13167
	v_div_scale_f64 v[30:31], s[28:29], v[16:17], v[16:17], s[26:27]
	v_rcp_f64_e32 v[32:33], v[30:31]
	v_fma_f64 v[34:35], -v[30:31], v[32:33], 1.0
	v_fma_f64 v[32:33], v[32:33], v[34:35], v[32:33]
	v_fma_f64 v[34:35], -v[30:31], v[32:33], 1.0
	v_fma_f64 v[32:33], v[32:33], v[34:35], v[32:33]
	v_div_scale_f64 v[34:35], vcc, s[26:27], v[16:17], s[26:27]
	v_mul_f64 v[36:37], v[34:35], v[32:33]
	v_fma_f64 v[30:31], -v[30:31], v[36:37], v[34:35]
	s_nop 1
	v_div_fmas_f64 v[30:31], v[30:31], v[32:33], v[36:37]
	v_div_fixup_f64 v[16:17], v[30:31], v[16:17], s[26:27]
	s_mov_b32 s26, 0xbd76181
	s_mov_b32 s27, 0xbf0788c4
	v_fma_f64 v[48:49], v[2:3], v[41:42], v[16:17]
	v_mov_b32_e32 v2, 0x92ad76d8
	;; [unrolled: 43-line block ×5, first 2 shown]
	v_mov_b32_e32 v3, 0x3e8333d8
	v_fma_f64 v[2:3], v[50:51], s[26:27], v[2:3]
	s_mov_b32 s26, 0xd4d3dfad
	s_mov_b32 s27, 0xbef1314a
	v_fma_f64 v[2:3], v[50:51], v[2:3], s[26:27]
	s_mov_b32 s26, 0xe39df11
	s_mov_b32 s27, 0x3f52f8a2
	;; [unrolled: 3-line block ×9, first 2 shown]
	v_mul_f64 v[2:3], v[41:42], v[2:3]
	v_fma_f64 v[58:59], v[0:1], s[26:27], v[2:3]
	s_mov_b32 s26, 0x63c0feb6
	v_mov_b32_e32 v2, 0xb73411fd
	v_mov_b32_e32 v3, 0x3ee10aba
	s_mov_b32 s27, 0xbe59db0b
	v_fma_f64 v[2:3], v[50:51], s[26:27], v[2:3]
	s_mov_b32 s26, 0x8ebd8bfc
	s_mov_b32 s27, 0xbf4da36c
	v_fma_f64 v[2:3], v[50:51], v[2:3], s[26:27]
	s_mov_b32 s26, 0x34e75a00
	;; [unrolled: 3-line block ×9, first 2 shown]
	s_mov_b32 s27, 0x3f58d728
	v_mul_f64 v[2:3], v[41:42], v[2:3]
	v_fma_f64 v[56:57], v[0:1], s[26:27], v[2:3]
	s_mov_b32 s26, 0x1d2c6bed
	v_mov_b32_e32 v2, 0x9b04194
	v_mov_b32_e32 v3, 0xbf595e60
	s_mov_b32 s27, 0x3ef33fca
	v_fma_f64 v[2:3], v[50:51], s[26:27], v[2:3]
	s_mov_b32 s26, 0x40992d0d
	s_mov_b32 s27, 0x3fbe575b
	v_fma_f64 v[2:3], v[50:51], v[2:3], s[26:27]
	s_mov_b32 s26, 0x3f3b9825
	;; [unrolled: 3-line block ×8, first 2 shown]
	s_mov_b32 s27, 0x3fa391fc
	v_mul_f64 v[2:3], v[2:3], v[41:42]
	v_fma_f64 v[46:47], v[0:1], s[26:27], v[2:3]
	s_mov_b32 s26, 0x41f77718
	v_mov_b32_e32 v2, 0x643c4348
	v_mov_b32_e32 v3, 0xbf624130
	s_mov_b32 s27, 0x3efd208e
	v_fma_f64 v[2:3], v[50:51], s[26:27], v[2:3]
	s_mov_b32 s26, 0x1ff2843f
	s_mov_b32 s27, 0x3fc49e31
	v_fma_f64 v[2:3], v[50:51], v[2:3], s[26:27]
	s_mov_b32 s26, 0xf597947f
	;; [unrolled: 3-line block ×8, first 2 shown]
	s_mov_b32 s27, 0x3fd15787
	v_mul_f64 v[2:3], v[2:3], v[41:42]
	v_fma_f64 v[44:45], v[0:1], s[26:27], v[2:3]
	s_mov_b32 s26, 0xe963dc48
	s_mov_b32 s27, 0xbf941743
	v_fma_f64 v[2:3], v[41:42], s[26:27], v[0:1]
	v_add_f64 v[2:3], v[2:3], -v[44:45]
	v_add_f64 v[2:3], v[2:3], -v[46:47]
	;; [unrolled: 1-line block ×4, first 2 shown]
.LBB0_18:
	s_or_b64 exec, exec, s[4:5]
                                        ; implicit-def: $vgpr50_vgpr51
.LBB0_19:
	s_andn2_saveexec_b64 s[4:5], s[24:25]
	s_cbranch_execz .LBB0_21
; %bb.20:
	s_mov_b32 s24, 0
	s_mov_b32 s25, 0xc0368000
	v_add_f64 v[50:51], v[50:51], s[24:25]
	s_mov_b32 s24, 0xa145b792
	v_mov_b32_e32 v2, 0xe7d2b0fe
	v_mov_b32_e32 v3, 0x3d00a65f
	s_mov_b32 s25, 0xbcd485fe
	v_fma_f64 v[2:3], v[50:51], s[24:25], v[2:3]
	s_mov_b32 s24, 0xd81a9f5b
	s_mov_b32 s25, 0x3d4459b3
	v_fma_f64 v[2:3], v[50:51], v[2:3], s[24:25]
	s_mov_b32 s24, 0x5dcfbb4c
	s_mov_b32 s25, 0xbd878b66
	v_fma_f64 v[2:3], v[50:51], v[2:3], s[24:25]
	s_mov_b32 s24, 0xd441c9e5
	s_mov_b32 s25, 0x3d999cb3
	v_fma_f64 v[2:3], v[50:51], v[2:3], s[24:25]
	s_mov_b32 s24, 0xa8b1c9c5
	s_mov_b32 s25, 0x3deddc52
	v_fma_f64 v[2:3], v[50:51], v[2:3], s[24:25]
	s_mov_b32 s24, 0xfe90cb38
	s_mov_b32 s25, 0x3e2e99d8
	v_fma_f64 v[2:3], v[50:51], v[2:3], s[24:25]
	s_mov_b32 s24, 0xba558a3
	s_mov_b32 s25, 0xbe94629f
	v_fma_f64 v[2:3], v[50:51], v[2:3], s[24:25]
	s_mov_b32 s24, 0x41de8b82
	s_mov_b32 s25, 0x3ee3db69
	v_fma_f64 v[2:3], v[50:51], v[2:3], s[24:25]
	s_mov_b32 s24, 0x35ac9f1
	s_mov_b32 s25, 0xbf2e439c
	v_fma_f64 v[2:3], v[50:51], v[2:3], s[24:25]
	s_mov_b32 s24, 0xf7a311a2
	s_mov_b32 s25, 0x3f757d7f
	v_fma_f64 v[38:39], v[50:51], v[2:3], s[24:25]
	s_mov_b32 s24, 0x7efc761d
	v_mov_b32_e32 v2, 0xb86de6a5
	v_mov_b32_e32 v3, 0xbd0b89e6
	s_mov_b32 s25, 0x3cb4e333
	v_fma_f64 v[2:3], v[50:51], s[24:25], v[2:3]
	s_mov_b32 s24, 0xa96dd3cb
	s_mov_b32 s25, 0x3d316816
	v_fma_f64 v[2:3], v[50:51], v[2:3], s[24:25]
	s_mov_b32 s24, 0x9d44d214
	s_mov_b32 s25, 0x3d7d063f
	v_fma_f64 v[2:3], v[50:51], v[2:3], s[24:25]
	s_mov_b32 s24, 0x2a0c837e
	s_mov_b32 s25, 0xbdbe0376
	v_fma_f64 v[2:3], v[50:51], v[2:3], s[24:25]
	s_mov_b32 s24, 0x4f2881d6
	s_mov_b32 s25, 0x3dc4653d
	v_fma_f64 v[2:3], v[50:51], v[2:3], s[24:25]
	s_mov_b32 s24, 0xda515699
	s_mov_b32 s25, 0x3e230a1a
	v_fma_f64 v[2:3], v[50:51], v[2:3], s[24:25]
	s_mov_b32 s24, 0xfe69745d
	s_mov_b32 s25, 0x3e68c866
	v_fma_f64 v[2:3], v[50:51], v[2:3], s[24:25]
	s_mov_b32 s24, 0xdcffb936
	s_mov_b32 s25, 0xbecbe1cf
	v_fma_f64 v[2:3], v[50:51], v[2:3], s[24:25]
	s_mov_b32 s24, 0x2c973c21
	s_mov_b32 s25, 0x3f19cfc6
	v_fma_f64 v[2:3], v[50:51], v[2:3], s[24:25]
	s_mov_b32 s24, 0xa705b7a0
	s_mov_b32 s25, 0xbf62d961
	v_fma_f64 v[2:3], v[50:51], v[2:3], s[24:25]
	s_mov_b32 s24, 0x90ddaafb
	s_mov_b32 s25, 0x3fa9a4ad
	v_fma_f64 v[48:49], v[50:51], v[2:3], s[24:25]
	s_mov_b32 s24, 0xf6e016b7
	v_mov_b32_e32 v2, 0x67ef8a26
	v_mov_b32_e32 v3, 0xbd2b8d46
	s_mov_b32 s25, 0x3ce1c017
	v_fma_f64 v[2:3], v[50:51], s[24:25], v[2:3]
	s_mov_b32 s24, 0xdcde2a65
	;; [unrolled: 35-line block ×5, first 2 shown]
	s_mov_b32 s25, 0x3d6b813e
	v_fma_f64 v[2:3], v[50:51], v[2:3], s[24:25]
	s_mov_b32 s24, 0x4c62311d
	s_mov_b32 s25, 0xbdbc02e9
	v_fma_f64 v[2:3], v[50:51], v[2:3], s[24:25]
	s_mov_b32 s24, 0x5b6bc27e
	s_mov_b32 s25, 0x3de454e6
	v_fma_f64 v[2:3], v[50:51], v[2:3], s[24:25]
	s_mov_b32 s24, 0x824ee3e8
	s_mov_b32 s25, 0x3e1a2ad7
	v_fma_f64 v[2:3], v[50:51], v[2:3], s[24:25]
	s_mov_b32 s24, 0x480ce143
	s_mov_b32 s25, 0x3e43c226
	v_fma_f64 v[2:3], v[50:51], v[2:3], s[24:25]
	s_mov_b32 s24, 0x4d1ab228
	s_mov_b32 s25, 0xbec26829
	v_fma_f64 v[2:3], v[50:51], v[2:3], s[24:25]
	s_mov_b32 s24, 0x43d4f302
	s_mov_b32 s25, 0x3f16b245
	v_fma_f64 v[2:3], v[50:51], v[2:3], s[24:25]
	s_mov_b32 s24, 0x1565e33a
	s_mov_b32 s25, 0xbf67290a
	v_fma_f64 v[2:3], v[50:51], v[2:3], s[24:25]
	s_mov_b32 s24, 0x72e00ab9
	s_mov_b32 s25, 0x3fc079d7
	v_fma_f64 v[41:42], v[50:51], v[2:3], s[24:25]
	s_mov_b32 s24, 0xbc89c281
	v_mov_b32_e32 v2, 0x862daea3
	v_mov_b32_e32 v3, 0xbd321c5c
	s_mov_b32 s25, 0x3cf8e084
	v_fma_f64 v[2:3], v[50:51], s[24:25], v[2:3]
	s_mov_b32 s24, 0x4b9335f4
	s_mov_b32 s25, 0xbd50991e
	v_fma_f64 v[2:3], v[50:51], v[2:3], s[24:25]
	s_mov_b32 s24, 0xa4c657e5
	s_mov_b32 s25, 0x3da22ab6
	v_fma_f64 v[2:3], v[50:51], v[2:3], s[24:25]
	s_mov_b32 s24, 0x16143f9e
	s_mov_b32 s25, 0x3dd95ec9
	v_fma_f64 v[2:3], v[50:51], v[2:3], s[24:25]
	s_mov_b32 s24, 0x9a0e00f9
	s_mov_b32 s25, 0xbe38666c
	v_fma_f64 v[2:3], v[50:51], v[2:3], s[24:25]
	s_mov_b32 s24, 0xec70f4a3
	s_mov_b32 s25, 0x3e80704e
	v_fma_f64 v[2:3], v[50:51], v[2:3], s[24:25]
	s_mov_b32 s24, 0x8f11dfa7
	s_mov_b32 s25, 0xbec1c6f0
	v_fma_f64 v[2:3], v[50:51], v[2:3], s[24:25]
	s_mov_b32 s24, 0xcef0727c
	s_mov_b32 s25, 0x3f063587
	v_fma_f64 v[2:3], v[50:51], v[2:3], s[24:25]
	s_mov_b32 s24, 0x61811cb3
	s_mov_b32 s25, 0xbf52bf44
	v_fma_f64 v[2:3], v[50:51], v[2:3], s[24:25]
	s_mov_b32 s24, 0xdc9daee7
	s_mov_b32 s25, 0x3fa9f033
	v_fma_f64 v[44:45], v[50:51], v[2:3], s[24:25]
	s_mov_b32 s24, 0x4ecd6f7c
	v_mov_b32_e32 v2, 0x3d4a79ba
	v_mov_b32_e32 v3, 0xbd2cd033
	s_mov_b32 s25, 0x3cf1fd6e
	v_fma_f64 v[2:3], v[50:51], s[24:25], v[2:3]
	s_mov_b32 s24, 0x25e98841
	;; [unrolled: 32-line block ×3, first 2 shown]
	s_mov_b32 s25, 0x3cc6126f
	v_fma_f64 v[2:3], v[50:51], v[2:3], s[24:25]
	s_mov_b32 s24, 0xaed5533c
	s_mov_b32 s25, 0xbd033347
	v_fma_f64 v[2:3], v[50:51], v[2:3], s[24:25]
	s_mov_b32 s24, 0x67a2f4b7
	;; [unrolled: 3-line block ×11, first 2 shown]
	v_mov_b32_e32 v2, 0xb494a3dd
	v_mov_b32_e32 v3, 0x3bf46dfb
	s_mov_b32 s25, 0xbbbaa199
	v_fma_f64 v[2:3], v[50:51], s[24:25], v[2:3]
	s_mov_b32 s24, 0xf30aba64
	s_mov_b32 s25, 0xbc3d4619
	v_fma_f64 v[2:3], v[50:51], v[2:3], s[24:25]
	s_mov_b32 s24, 0x6e6a47a8
	;; [unrolled: 3-line block ×12, first 2 shown]
	s_mov_b32 s25, 0x3ebbb6b0
	v_fma_f64 v[58:59], v[50:51], v[2:3], s[24:25]
.LBB0_21:
	s_or_b64 exec, exec, s[4:5]
                                        ; implicit-def: $vgpr50_vgpr51
.LBB0_22:
	s_andn2_saveexec_b64 s[4:5], s[22:23]
	s_cbranch_execz .LBB0_24
; %bb.23:
	s_mov_b32 s22, 0
	s_mov_b32 s23, 0xc0318000
	v_add_f64 v[50:51], v[50:51], s[22:23]
	s_mov_b32 s22, 0x5bd5d537
	v_mov_b32_e32 v2, 0xd2b66658
	v_mov_b32_e32 v3, 0x3ccc3b31
	s_mov_b32 s23, 0x3caba6f7
	v_fma_f64 v[2:3], v[50:51], s[22:23], v[2:3]
	s_mov_b32 s22, 0xe0167c9f
	s_mov_b32 s23, 0xbd225b6a
	v_fma_f64 v[2:3], v[50:51], v[2:3], s[22:23]
	s_mov_b32 s22, 0x8dcffaa9
	s_mov_b32 s23, 0xbd40b3b9
	v_fma_f64 v[2:3], v[50:51], v[2:3], s[22:23]
	s_mov_b32 s22, 0xc45fc5cf
	s_mov_b32 s23, 0x3d92cd6c
	v_fma_f64 v[2:3], v[50:51], v[2:3], s[22:23]
	s_mov_b32 s22, 0xf0fa0d39
	s_mov_b32 s23, 0x3dc274a2
	v_fma_f64 v[2:3], v[50:51], v[2:3], s[22:23]
	s_mov_b32 s22, 0x4fb7934c
	s_mov_b32 s23, 0xbe134e6c
	v_fma_f64 v[2:3], v[50:51], v[2:3], s[22:23]
	s_mov_b32 s22, 0x8eff9965
	s_mov_b32 s23, 0x3e4a709c
	v_fma_f64 v[2:3], v[50:51], v[2:3], s[22:23]
	s_mov_b32 s22, 0x260fafc2
	s_mov_b32 s23, 0xbe9ad565
	v_fma_f64 v[2:3], v[50:51], v[2:3], s[22:23]
	s_mov_b32 s22, 0x1512f435
	s_mov_b32 s23, 0x3eee7f1d
	v_fma_f64 v[2:3], v[50:51], v[2:3], s[22:23]
	s_mov_b32 s22, 0xb10c3b61
	s_mov_b32 s23, 0xbf36ee8d
	v_fma_f64 v[2:3], v[50:51], v[2:3], s[22:23]
	s_mov_b32 s22, 0xf7274d21
	s_mov_b32 s23, 0x3f7b5a0f
	v_fma_f64 v[38:39], v[50:51], v[2:3], s[22:23]
	s_mov_b32 s22, 0xdd29cda0
	v_mov_b32_e32 v2, 0x3b6483ef
	v_mov_b32_e32 v3, 0x3d06e330
	s_mov_b32 s23, 0x3ce243c0
	v_fma_f64 v[2:3], v[50:51], s[22:23], v[2:3]
	s_mov_b32 s22, 0x592d939d
	s_mov_b32 s23, 0xbd57d287
	v_fma_f64 v[2:3], v[50:51], v[2:3], s[22:23]
	s_mov_b32 s22, 0x65dd014f
	s_mov_b32 s23, 0xbd7c6c44
	v_fma_f64 v[2:3], v[50:51], v[2:3], s[22:23]
	s_mov_b32 s22, 0xa6fb0e29
	s_mov_b32 s23, 0x3dc8e3c6
	v_fma_f64 v[2:3], v[50:51], v[2:3], s[22:23]
	s_mov_b32 s22, 0xfeeb09b7
	s_mov_b32 s23, 0x3dfa7b72
	v_fma_f64 v[2:3], v[50:51], v[2:3], s[22:23]
	s_mov_b32 s22, 0x5260e07d
	s_mov_b32 s23, 0xbe497072
	v_fma_f64 v[2:3], v[50:51], v[2:3], s[22:23]
	s_mov_b32 s22, 0xe210b0b1
	s_mov_b32 s23, 0x3e821741
	v_fma_f64 v[2:3], v[50:51], v[2:3], s[22:23]
	s_mov_b32 s22, 0xf24b27bc
	s_mov_b32 s23, 0xbed2c816
	v_fma_f64 v[2:3], v[50:51], v[2:3], s[22:23]
	s_mov_b32 s22, 0x201cf5a7
	s_mov_b32 s23, 0x3f244f04
	v_fma_f64 v[2:3], v[50:51], v[2:3], s[22:23]
	s_mov_b32 s22, 0x4e6c0397
	s_mov_b32 s23, 0xbf6d1fe2
	v_fma_f64 v[2:3], v[50:51], v[2:3], s[22:23]
	s_mov_b32 s22, 0x2911b19e
	s_mov_b32 s23, 0x3fb0827f
	v_fma_f64 v[48:49], v[50:51], v[2:3], s[22:23]
	;; [unrolled: 35-line block ×4, first 2 shown]
	s_mov_b32 s22, 0x6d8dfa60
	s_mov_b32 s23, 0x3fe1fd4d
	v_fma_f64 v[52:53], v[50:51], v[2:3], s[22:23]
	s_mov_b32 s22, 0x55bc102d
	v_mov_b32_e32 v2, 0x1810027c
	v_mov_b32_e32 v3, 0x3d417933
	s_mov_b32 s23, 0x3d0a90dc
	v_fma_f64 v[2:3], v[50:51], s[22:23], v[2:3]
	s_mov_b32 s22, 0x61ce1b52
	s_mov_b32 s23, 0xbd911ed6
	v_fma_f64 v[2:3], v[50:51], v[2:3], s[22:23]
	s_mov_b32 s22, 0x98767540
	;; [unrolled: 3-line block ×12, first 2 shown]
	v_mov_b32_e32 v2, 0xd07f41a4
	v_mov_b32_e32 v3, 0xbcc91070
	s_mov_b32 s23, 0x3cdf7f29
	v_fma_f64 v[2:3], v[50:51], s[22:23], v[2:3]
	s_mov_b32 s22, 0xf1e8a560
	s_mov_b32 s23, 0xbd551d81
	v_fma_f64 v[2:3], v[50:51], v[2:3], s[22:23]
	s_mov_b32 s22, 0x933df355
	s_mov_b32 s23, 0x3d4c726d
	v_fma_f64 v[2:3], v[50:51], v[2:3], s[22:23]
	s_mov_b32 s22, 0x9e271c57
	s_mov_b32 s23, 0x3dc52f74
	v_fma_f64 v[2:3], v[50:51], v[2:3], s[22:23]
	s_mov_b32 s22, 0xcaef88ac
	s_mov_b32 s23, 0x3de415e8
	v_fma_f64 v[2:3], v[50:51], v[2:3], s[22:23]
	s_mov_b32 s22, 0x89a6d81e
	s_mov_b32 s23, 0xbe45c95e
	v_fma_f64 v[2:3], v[50:51], v[2:3], s[22:23]
	s_mov_b32 s22, 0x42cb713f
	s_mov_b32 s23, 0x3e7e681a
	v_fma_f64 v[2:3], v[50:51], v[2:3], s[22:23]
	s_mov_b32 s22, 0x431b61c1
	s_mov_b32 s23, 0xbec80ace
	v_fma_f64 v[2:3], v[50:51], v[2:3], s[22:23]
	s_mov_b32 s22, 0x954e7629
	s_mov_b32 s23, 0x3f1ff87c
	v_fma_f64 v[2:3], v[50:51], v[2:3], s[22:23]
	s_mov_b32 s22, 0xc8e9be03
	s_mov_b32 s23, 0xbf6fa52a
	v_fma_f64 v[2:3], v[50:51], v[2:3], s[22:23]
	s_mov_b32 s22, 0xd5b39aab
	s_mov_b32 s23, 0x3fc29922
	v_fma_f64 v[41:42], v[50:51], v[2:3], s[22:23]
	s_mov_b32 s22, 0xdc4475ab
	v_mov_b32_e32 v2, 0xa23d859
	v_mov_b32_e32 v3, 0x3ce0a9fc
	s_mov_b32 s23, 0xbcd40829
	v_fma_f64 v[2:3], v[50:51], s[22:23], v[2:3]
	s_mov_b32 s22, 0xa5dec987
	s_mov_b32 s23, 0x3d412db9
	v_fma_f64 v[2:3], v[50:51], v[2:3], s[22:23]
	s_mov_b32 s22, 0x6e3db02e
	s_mov_b32 s23, 0x3d766e65
	v_fma_f64 v[2:3], v[50:51], v[2:3], s[22:23]
	s_mov_b32 s22, 0x49d0080b
	s_mov_b32 s23, 0xbdcd5df8
	v_fma_f64 v[2:3], v[50:51], v[2:3], s[22:23]
	s_mov_b32 s22, 0x4131e3de
	s_mov_b32 s23, 0x3e052b4e
	v_fma_f64 v[2:3], v[50:51], v[2:3], s[22:23]
	s_mov_b32 s22, 0x61375fd6
	s_mov_b32 s23, 0xbe45abd9
	v_fma_f64 v[2:3], v[50:51], v[2:3], s[22:23]
	s_mov_b32 s22, 0xa82dee53
	s_mov_b32 s23, 0x3e9383ab
	v_fma_f64 v[2:3], v[50:51], v[2:3], s[22:23]
	s_mov_b32 s22, 0x87d8e61b
	s_mov_b32 s23, 0xbed9ae85
	v_fma_f64 v[2:3], v[50:51], v[2:3], s[22:23]
	s_mov_b32 s22, 0x6ed047af
	s_mov_b32 s23, 0x3f1a3de5
	v_fma_f64 v[2:3], v[50:51], v[2:3], s[22:23]
	s_mov_b32 s22, 0xb87284f9
	s_mov_b32 s23, 0xbf5d9a27
	v_fma_f64 v[2:3], v[50:51], v[2:3], s[22:23]
	s_mov_b32 s22, 0x6ff0913d
	s_mov_b32 s23, 0x3fad9817
	v_fma_f64 v[44:45], v[50:51], v[2:3], s[22:23]
	s_mov_b32 s22, 0x62b698e2
	;; [unrolled: 35-line block ×4, first 2 shown]
	s_mov_b32 s23, 0x3f374158
	v_fma_f64 v[56:57], v[50:51], v[2:3], s[22:23]
	s_mov_b32 s22, 0x87adc0a8
	v_mov_b32_e32 v2, 0xf57d67dc
	v_mov_b32_e32 v3, 0xbc1f58f5
	s_mov_b32 s23, 0x3bdfce7c
	v_fma_f64 v[2:3], v[50:51], s[22:23], v[2:3]
	s_mov_b32 s22, 0xcefeb36e
	s_mov_b32 s23, 0x3c5bcf8e
	v_fma_f64 v[2:3], v[50:51], v[2:3], s[22:23]
	s_mov_b32 s22, 0x30c509b5
	;; [unrolled: 3-line block ×13, first 2 shown]
	s_mov_b32 s23, 0x3ec4710b
	v_fma_f64 v[58:59], v[50:51], v[2:3], s[22:23]
.LBB0_24:
	s_or_b64 exec, exec, s[4:5]
                                        ; implicit-def: $vgpr50_vgpr51
.LBB0_25:
	s_andn2_saveexec_b64 s[4:5], s[20:21]
	s_cbranch_execz .LBB0_27
; %bb.26:
	s_mov_b32 s20, 0
	s_mov_b32 s21, 0xc0290000
	v_add_f64 v[50:51], v[50:51], s[20:21]
	s_mov_b32 s20, 0x4d6c9a3b
	v_mov_b32_e32 v2, 0x3d981884
	v_mov_b32_e32 v3, 0x3cc9f8e1
	s_mov_b32 s21, 0xbc8800cd
	v_fma_f64 v[2:3], v[50:51], s[20:21], v[2:3]
	s_mov_b32 s20, 0x3b4af91c
	s_mov_b32 s21, 0x3d0f6f5b
	v_fma_f64 v[2:3], v[50:51], v[2:3], s[20:21]
	s_mov_b32 s20, 0x779e3f29
	s_mov_b32 s21, 0x3d249b50
	v_fma_f64 v[2:3], v[50:51], v[2:3], s[20:21]
	s_mov_b32 s20, 0x2769b7e0
	s_mov_b32 s21, 0xbd9245f4
	v_fma_f64 v[2:3], v[50:51], v[2:3], s[20:21]
	s_mov_b32 s20, 0xf274b5f2
	s_mov_b32 s21, 0x3db94dce
	v_fma_f64 v[2:3], v[50:51], v[2:3], s[20:21]
	s_mov_b32 s20, 0x44ffa235
	s_mov_b32 s21, 0xbe11c088
	v_fma_f64 v[2:3], v[50:51], v[2:3], s[20:21]
	s_mov_b32 s20, 0xf5e40957
	s_mov_b32 s21, 0x3e657680
	v_fma_f64 v[2:3], v[50:51], v[2:3], s[20:21]
	s_mov_b32 s20, 0xa370ab3a
	s_mov_b32 s21, 0xbeaf609a
	v_fma_f64 v[2:3], v[50:51], v[2:3], s[20:21]
	s_mov_b32 s20, 0x88880c42
	s_mov_b32 s21, 0x3ef90499
	v_fma_f64 v[2:3], v[50:51], v[2:3], s[20:21]
	s_mov_b32 s20, 0x6e384c9f
	s_mov_b32 s21, 0xbf418975
	v_fma_f64 v[2:3], v[50:51], v[2:3], s[20:21]
	s_mov_b32 s20, 0xd0812840
	s_mov_b32 s21, 0x3f822118
	v_fma_f64 v[38:39], v[50:51], v[2:3], s[20:21]
	s_mov_b32 s20, 0xd5d25680
	v_mov_b32_e32 v2, 0x2e31aec3
	v_mov_b32_e32 v3, 0x3cfc2516
	s_mov_b32 s21, 0xbcc0706e
	v_fma_f64 v[2:3], v[50:51], s[20:21], v[2:3]
	s_mov_b32 s20, 0x73251650
	s_mov_b32 s21, 0x3d48756e
	v_fma_f64 v[2:3], v[50:51], v[2:3], s[20:21]
	s_mov_b32 s20, 0x22a1d1ca
	s_mov_b32 s21, 0x3d393b64
	v_fma_f64 v[2:3], v[50:51], v[2:3], s[20:21]
	s_mov_b32 s20, 0x8a6a4e97
	s_mov_b32 s21, 0xbdc37491
	v_fma_f64 v[2:3], v[50:51], v[2:3], s[20:21]
	s_mov_b32 s20, 0x1dd41cf2
	s_mov_b32 s21, 0x3dda4832
	v_fma_f64 v[2:3], v[50:51], v[2:3], s[20:21]
	s_mov_b32 s20, 0xd08330f4
	s_mov_b32 s21, 0xbe44fcab
	v_fma_f64 v[2:3], v[50:51], v[2:3], s[20:21]
	s_mov_b32 s20, 0x5702a78f
	s_mov_b32 s21, 0x3e9c74d9
	v_fma_f64 v[2:3], v[50:51], v[2:3], s[20:21]
	s_mov_b32 s20, 0x24cfa980
	s_mov_b32 s21, 0xbee578b7
	v_fma_f64 v[2:3], v[50:51], v[2:3], s[20:21]
	s_mov_b32 s20, 0xc6a4ccdd
	s_mov_b32 s21, 0x3f30e850
	v_fma_f64 v[2:3], v[50:51], v[2:3], s[20:21]
	s_mov_b32 s20, 0xd1bcb01
	s_mov_b32 s21, 0xbf76b8d4
	v_fma_f64 v[2:3], v[50:51], v[2:3], s[20:21]
	s_mov_b32 s20, 0xa1d5eb5f
	s_mov_b32 s21, 0x3fb63a21
	v_fma_f64 v[48:49], v[50:51], v[2:3], s[20:21]
	;; [unrolled: 35-line block ×5, first 2 shown]
	s_mov_b32 s20, 0x9bac35db
	s_mov_b32 s21, 0x400efc7b
	v_fma_f64 v[54:55], v[50:51], v[2:3], s[20:21]
	s_mov_b32 s20, 0xccbc4382
	v_mov_b32_e32 v2, 0x8fe1b4c0
	v_mov_b32_e32 v3, 0x3d346d07
	s_mov_b32 s21, 0x3d0438a9
	v_fma_f64 v[2:3], v[50:51], s[20:21], v[2:3]
	s_mov_b32 s20, 0x2b3a695b
	s_mov_b32 s21, 0x3d307872
	v_fma_f64 v[2:3], v[50:51], v[2:3], s[20:21]
	s_mov_b32 s20, 0xfb4ad36
	;; [unrolled: 3-line block ×10, first 2 shown]
	v_mov_b32_e32 v2, 0x5fc3e8cf
	v_mov_b32_e32 v3, 0x3d1629f8
	s_mov_b32 s21, 0xbcd300e4
	v_fma_f64 v[2:3], v[50:51], s[20:21], v[2:3]
	s_mov_b32 s20, 0xc885dd0a
	s_mov_b32 s21, 0xbd635a41
	v_fma_f64 v[2:3], v[50:51], v[2:3], s[20:21]
	s_mov_b32 s20, 0xb1610f8b
	;; [unrolled: 3-line block ×11, first 2 shown]
	v_mov_b32_e32 v2, 0x79c7fa83
	v_mov_b32_e32 v3, 0xbcfc1d10
	s_mov_b32 s21, 0x3cb9f134
	v_fma_f64 v[2:3], v[50:51], s[20:21], v[2:3]
	s_mov_b32 s20, 0x275ae779
	s_mov_b32 s21, 0x3d3bfe5a
	v_fma_f64 v[2:3], v[50:51], v[2:3], s[20:21]
	s_mov_b32 s20, 0x1a07c712
	;; [unrolled: 3-line block ×12, first 2 shown]
	v_mov_b32_e32 v2, 0x324f96b8
	v_mov_b32_e32 v3, 0xbc88e31e
	s_mov_b32 s21, 0x3c472a6e
	v_fma_f64 v[2:3], v[50:51], s[20:21], v[2:3]
	s_mov_b32 s20, 0x72ff556d
	s_mov_b32 s21, 0x3cc7a056
	v_fma_f64 v[2:3], v[50:51], v[2:3], s[20:21]
	s_mov_b32 s20, 0x50bf5eff
	;; [unrolled: 3-line block ×14, first 2 shown]
	v_mov_b32_e32 v2, 0x1597301d
	v_mov_b32_e32 v3, 0x3c43f1b4
	s_mov_b32 s21, 0xbc030b21
	v_fma_f64 v[2:3], v[50:51], s[20:21], v[2:3]
	s_mov_b32 s20, 0x2430899
	s_mov_b32 s21, 0xbc81ea0e
	v_fma_f64 v[2:3], v[50:51], v[2:3], s[20:21]
	s_mov_b32 s20, 0xa787b08b
	;; [unrolled: 3-line block ×14, first 2 shown]
	s_mov_b32 s21, 0x3ee4da26
	v_fma_f64 v[58:59], v[50:51], v[2:3], s[20:21]
.LBB0_27:
	s_or_b64 exec, exec, s[4:5]
                                        ; implicit-def: $vgpr50_vgpr51
.LBB0_28:
	s_andn2_saveexec_b64 s[4:5], s[18:19]
	s_cbranch_execz .LBB0_30
; %bb.29:
	s_mov_b32 s18, 0
	s_mov_b32 s19, 0xc01e0000
	v_add_f64 v[50:51], v[50:51], s[18:19]
	s_mov_b32 s18, 0x7b53cd06
	v_mov_b32_e32 v2, 0x3a3a91a0
	v_mov_b32_e32 v3, 0x3d4ab405
	s_mov_b32 s19, 0xbd09a193
	v_fma_f64 v[2:3], v[50:51], s[18:19], v[2:3]
	s_mov_b32 s18, 0xa95d399e
	s_mov_b32 s19, 0xbd952de5
	v_fma_f64 v[2:3], v[50:51], v[2:3], s[18:19]
	s_mov_b32 s18, 0x7dd99203
	s_mov_b32 s19, 0x3de58836
	v_fma_f64 v[2:3], v[50:51], v[2:3], s[18:19]
	s_mov_b32 s18, 0x65d03661
	s_mov_b32 s19, 0xbe300dc7
	v_fma_f64 v[2:3], v[50:51], v[2:3], s[18:19]
	s_mov_b32 s18, 0xea9ffc1
	s_mov_b32 s19, 0x3e7895bb
	v_fma_f64 v[2:3], v[50:51], v[2:3], s[18:19]
	s_mov_b32 s18, 0xe54b4ea0
	s_mov_b32 s19, 0xbec1eec8
	v_fma_f64 v[2:3], v[50:51], v[2:3], s[18:19]
	s_mov_b32 s18, 0xc5903d9b
	s_mov_b32 s19, 0x3f07efac
	v_fma_f64 v[2:3], v[50:51], v[2:3], s[18:19]
	s_mov_b32 s18, 0x33a0d43c
	s_mov_b32 s19, 0xbf4c7158
	v_fma_f64 v[2:3], v[50:51], v[2:3], s[18:19]
	s_mov_b32 s18, 0xe8a8a91a
	s_mov_b32 s19, 0x3f892135
	v_fma_f64 v[38:39], v[50:51], v[2:3], s[18:19]
	s_mov_b32 s18, 0x89976343
	v_mov_b32_e32 v2, 0xcf7fb619
	v_mov_b32_e32 v3, 0x3d0ccb90
	s_mov_b32 s19, 0xbcf08912
	v_fma_f64 v[2:3], v[50:51], s[18:19], v[2:3]
	s_mov_b32 s18, 0xc7a001d8
	s_mov_b32 s19, 0xbd76cecf
	v_fma_f64 v[2:3], v[50:51], v[2:3], s[18:19]
	s_mov_b32 s18, 0x13e51e0e
	s_mov_b32 s19, 0x3db03de1
	v_fma_f64 v[2:3], v[50:51], v[2:3], s[18:19]
	s_mov_b32 s18, 0x6b7bd0f9
	s_mov_b32 s19, 0x3e02c646
	v_fma_f64 v[2:3], v[50:51], v[2:3], s[18:19]
	s_mov_b32 s18, 0xd8250407
	s_mov_b32 s19, 0xbe5a0ad7
	v_fma_f64 v[2:3], v[50:51], v[2:3], s[18:19]
	s_mov_b32 s18, 0x3fb9d89f
	s_mov_b32 s19, 0x3eab87b4
	v_fma_f64 v[2:3], v[50:51], v[2:3], s[18:19]
	s_mov_b32 s18, 0xcaf11e3
	s_mov_b32 s19, 0xbef71bc3
	v_fma_f64 v[2:3], v[50:51], v[2:3], s[18:19]
	s_mov_b32 s18, 0x4bd145e0
	s_mov_b32 s19, 0x3f4010e5
	v_fma_f64 v[2:3], v[50:51], v[2:3], s[18:19]
	s_mov_b32 s18, 0xc8a6ce3e
	s_mov_b32 s19, 0xbf82b988
	v_fma_f64 v[2:3], v[50:51], v[2:3], s[18:19]
	s_mov_b32 s18, 0xad6c1b91
	s_mov_b32 s19, 0x3fbf6215
	v_fma_f64 v[48:49], v[50:51], v[2:3], s[18:19]
	s_mov_b32 s18, 0x3d7689a9
	v_mov_b32_e32 v2, 0x352ff8a5
	v_mov_b32_e32 v3, 0xbd688089
	s_mov_b32 s19, 0x3d0f4dce
	v_fma_f64 v[2:3], v[50:51], s[18:19], v[2:3]
	s_mov_b32 s18, 0x60872669
	;; [unrolled: 32-line block ×3, first 2 shown]
	s_mov_b32 s19, 0x3d90821d
	v_fma_f64 v[2:3], v[50:51], v[2:3], s[18:19]
	s_mov_b32 s18, 0xc66f66ea
	s_mov_b32 s19, 0xbdbdc664
	v_fma_f64 v[2:3], v[50:51], v[2:3], s[18:19]
	s_mov_b32 s18, 0x7b141dc
	s_mov_b32 s19, 0xbe147434
	v_fma_f64 v[2:3], v[50:51], v[2:3], s[18:19]
	s_mov_b32 s18, 0xc4b9d6e1
	s_mov_b32 s19, 0x3e47c420
	v_fma_f64 v[2:3], v[50:51], v[2:3], s[18:19]
	s_mov_b32 s18, 0xe630f6c0
	s_mov_b32 s19, 0x3e9a8a8f
	v_fma_f64 v[2:3], v[50:51], v[2:3], s[18:19]
	s_mov_b32 s18, 0xe0dba7c8
	s_mov_b32 s19, 0xbed272f4
	v_fma_f64 v[2:3], v[50:51], v[2:3], s[18:19]
	s_mov_b32 s18, 0xc202b1bb
	s_mov_b32 s19, 0xbf2a5b64
	v_fma_f64 v[2:3], v[50:51], v[2:3], s[18:19]
	s_mov_b32 s18, 0xece5f442
	s_mov_b32 s19, 0x3f80291d
	v_fma_f64 v[2:3], v[50:51], v[2:3], s[18:19]
	s_mov_b32 s18, 0x61ea388a
	s_mov_b32 s19, 0xbfc22eea
	v_fma_f64 v[2:3], v[50:51], v[2:3], s[18:19]
	s_mov_b32 s18, 0x7abbe2f4
	s_mov_b32 s19, 0x3ff664ee
	v_fma_f64 v[52:53], v[50:51], v[2:3], s[18:19]
	s_mov_b32 s18, 0x25f57856
	v_mov_b32_e32 v2, 0x8b7ba76c
	v_mov_b32_e32 v3, 0xbd8496e5
	s_mov_b32 s19, 0xbd40cf5d
	v_fma_f64 v[2:3], v[50:51], s[18:19], v[2:3]
	s_mov_b32 s18, 0xda670191
	s_mov_b32 s19, 0x3d9e2d87
	v_fma_f64 v[2:3], v[50:51], v[2:3], s[18:19]
	s_mov_b32 s18, 0xdaac4360
	;; [unrolled: 3-line block ×11, first 2 shown]
	v_mov_b32_e32 v2, 0x4e41c8a5
	v_mov_b32_e32 v3, 0xbd517e41
	s_mov_b32 s19, 0x3d01e9e5
	v_fma_f64 v[2:3], v[50:51], s[18:19], v[2:3]
	s_mov_b32 s18, 0xc922ff7d
	s_mov_b32 s19, 0x3d94f0af
	v_fma_f64 v[2:3], v[50:51], v[2:3], s[18:19]
	s_mov_b32 s18, 0x78af78eb
	;; [unrolled: 3-line block ×10, first 2 shown]
	v_mov_b32_e32 v2, 0xd0bb85bd
	v_mov_b32_e32 v3, 0xbd1a6043
	s_mov_b32 s19, 0x3cd6a3e8
	v_fma_f64 v[2:3], v[50:51], s[18:19], v[2:3]
	s_mov_b32 s18, 0x42e9a33d
	s_mov_b32 s19, 0x3d5bf593
	v_fma_f64 v[2:3], v[50:51], v[2:3], s[18:19]
	s_mov_b32 s18, 0xf0ddbcb9
	;; [unrolled: 3-line block ×12, first 2 shown]
	v_mov_b32_e32 v2, 0x598aa2e3
	v_mov_b32_e32 v3, 0x3d0eee09
	s_mov_b32 s19, 0xbccd93bc
	v_fma_f64 v[2:3], v[50:51], s[18:19], v[2:3]
	s_mov_b32 s18, 0xdcee7665
	s_mov_b32 s19, 0xbd4c7821
	v_fma_f64 v[2:3], v[50:51], v[2:3], s[18:19]
	s_mov_b32 s18, 0xeb2d1e87
	;; [unrolled: 3-line block ×13, first 2 shown]
	v_mov_b32_e32 v2, 0x2a6491ab
	v_mov_b32_e32 v3, 0x3caab45c
	s_mov_b32 s19, 0xbc691454
	v_fma_f64 v[2:3], v[50:51], s[18:19], v[2:3]
	s_mov_b32 s18, 0xa828f8e
	s_mov_b32 s19, 0xbce89767
	v_fma_f64 v[2:3], v[50:51], v[2:3], s[18:19]
	s_mov_b32 s18, 0x534d4770
	;; [unrolled: 3-line block ×15, first 2 shown]
	v_mov_b32_e32 v2, 0x2b78eec9
	v_mov_b32_e32 v3, 0xbc6d2c50
	s_mov_b32 s19, 0x3c2ae52e
	v_fma_f64 v[2:3], v[50:51], s[18:19], v[2:3]
	s_mov_b32 s18, 0x5fc613e8
	s_mov_b32 s19, 0x3cab2ea6
	v_fma_f64 v[2:3], v[50:51], v[2:3], s[18:19]
	s_mov_b32 s18, 0xa7d44235
	;; [unrolled: 3-line block ×15, first 2 shown]
	s_mov_b32 s19, 0x3f26f077
	v_fma_f64 v[58:59], v[50:51], v[2:3], s[18:19]
.LBB0_30:
	s_or_b64 exec, exec, s[4:5]
                                        ; implicit-def: $vgpr50_vgpr51
.LBB0_31:
	s_andn2_saveexec_b64 s[4:5], s[16:17]
	s_cbranch_execz .LBB0_33
; %bb.32:
	s_mov_b32 s16, 0
	s_mov_b32 s17, 0xc0080000
	v_add_f64 v[50:51], v[50:51], s[16:17]
	s_mov_b32 s16, 0x55f799f6
	v_mov_b32_e32 v2, 0x1d9d4f9d
	v_mov_b32_e32 v3, 0x3d6ca502
	s_mov_b32 s17, 0xbd1d1111
	v_fma_f64 v[2:3], v[50:51], s[16:17], v[2:3]
	s_mov_b32 s16, 0x76cc3729
	s_mov_b32 s17, 0xbdb73ecc
	v_fma_f64 v[2:3], v[50:51], v[2:3], s[16:17]
	s_mov_b32 s16, 0x178a4465
	s_mov_b32 s17, 0x3e018471
	v_fma_f64 v[2:3], v[50:51], v[2:3], s[16:17]
	s_mov_b32 s16, 0xe78bb409
	s_mov_b32 s17, 0xbe48e948
	v_fma_f64 v[2:3], v[50:51], v[2:3], s[16:17]
	s_mov_b32 s16, 0xe9d95e38
	s_mov_b32 s17, 0x3e90902c
	v_fma_f64 v[2:3], v[50:51], v[2:3], s[16:17]
	s_mov_b32 s16, 0xe4e7b95c
	s_mov_b32 s17, 0xbed4a8c9
	v_fma_f64 v[2:3], v[50:51], v[2:3], s[16:17]
	s_mov_b32 s16, 0xd09274bd
	s_mov_b32 s17, 0x3f17a91d
	v_fma_f64 v[2:3], v[50:51], v[2:3], s[16:17]
	s_mov_b32 s16, 0x624b095
	s_mov_b32 s17, 0xbf57c9b6
	v_fma_f64 v[2:3], v[50:51], v[2:3], s[16:17]
	s_mov_b32 s16, 0x5a71d488
	s_mov_b32 s17, 0x3f91c204
	v_fma_f64 v[38:39], v[50:51], v[2:3], s[16:17]
	s_mov_b32 s16, 0xfaa5cf2a
	v_mov_b32_e32 v2, 0xd51bd4dd
	v_mov_b32_e32 v3, 0x3d2ea8ae
	s_mov_b32 s17, 0x3d078978
	v_fma_f64 v[2:3], v[50:51], s[16:17], v[2:3]
	s_mov_b32 s16, 0x1244702b
	s_mov_b32 s17, 0xbd953f4a
	v_fma_f64 v[2:3], v[50:51], v[2:3], s[16:17]
	s_mov_b32 s16, 0xa23aa789
	s_mov_b32 s17, 0x3ddf3e6b
	v_fma_f64 v[2:3], v[50:51], v[2:3], s[16:17]
	s_mov_b32 s16, 0x8b5ed64a
	s_mov_b32 s17, 0xbe12f915
	v_fma_f64 v[2:3], v[50:51], v[2:3], s[16:17]
	s_mov_b32 s16, 0x7565c476
	s_mov_b32 s17, 0xbe594529
	v_fma_f64 v[2:3], v[50:51], v[2:3], s[16:17]
	s_mov_b32 s16, 0xb25f2bdb
	s_mov_b32 s17, 0x3eb81efc
	v_fma_f64 v[2:3], v[50:51], v[2:3], s[16:17]
	s_mov_b32 s16, 0x94d9eb43
	s_mov_b32 s17, 0xbf0632d8
	v_fma_f64 v[2:3], v[50:51], v[2:3], s[16:17]
	s_mov_b32 s16, 0x55f5a3c3
	s_mov_b32 s17, 0x3f4de2b3
	v_fma_f64 v[2:3], v[50:51], v[2:3], s[16:17]
	s_mov_b32 s16, 0x6c653cb6
	s_mov_b32 s17, 0xbf8f3a50
	v_fma_f64 v[2:3], v[50:51], v[2:3], s[16:17]
	s_mov_b32 s16, 0x9cb9ecc8
	s_mov_b32 s17, 0x3fc688fa
	v_fma_f64 v[48:49], v[50:51], v[2:3], s[16:17]
	s_mov_b32 s16, 0x4de85980
	v_mov_b32_e32 v2, 0x3caefba3
	v_mov_b32_e32 v3, 0x3d64d4d7
	s_mov_b32 s17, 0xbd3369c3
	v_fma_f64 v[2:3], v[50:51], s[16:17], v[2:3]
	s_mov_b32 s16, 0xf2dd7a38
	;; [unrolled: 32-line block ×3, first 2 shown]
	s_mov_b32 s17, 0x3e0e5da0
	v_fma_f64 v[2:3], v[50:51], v[2:3], s[16:17]
	s_mov_b32 s16, 0x9b5c090c
	s_mov_b32 s17, 0x3e511723
	v_fma_f64 v[2:3], v[50:51], v[2:3], s[16:17]
	s_mov_b32 s16, 0x965b6a18
	s_mov_b32 s17, 0xbe81cb7b
	v_fma_f64 v[2:3], v[50:51], v[2:3], s[16:17]
	s_mov_b32 s16, 0x30c352fe
	s_mov_b32 s17, 0xbedfe2d6
	v_fma_f64 v[2:3], v[50:51], v[2:3], s[16:17]
	s_mov_b32 s16, 0x5e7841e1
	s_mov_b32 s17, 0xbf136ce5
	v_fma_f64 v[2:3], v[50:51], v[2:3], s[16:17]
	s_mov_b32 s16, 0x948674a0
	s_mov_b32 s17, 0x3f841988
	v_fma_f64 v[2:3], v[50:51], v[2:3], s[16:17]
	s_mov_b32 s16, 0xbe37c1b7
	s_mov_b32 s17, 0xbfcc8d15
	v_fma_f64 v[2:3], v[50:51], v[2:3], s[16:17]
	s_mov_b32 s16, 0x63983196
	s_mov_b32 s17, 0x4001b784
	v_fma_f64 v[52:53], v[50:51], v[2:3], s[16:17]
	s_mov_b32 s16, 0xf755955d
	v_mov_b32_e32 v2, 0xcfb72bde
	v_mov_b32_e32 v3, 0x3d8bd8b6
	s_mov_b32 s17, 0x3d69101d
	v_fma_f64 v[2:3], v[50:51], s[16:17], v[2:3]
	s_mov_b32 s16, 0xfd18807a
	s_mov_b32 s17, 0xbdd82007
	v_fma_f64 v[2:3], v[50:51], v[2:3], s[16:17]
	s_mov_b32 s16, 0x10f96f47
	s_mov_b32 s17, 0xbe241fe9
	v_fma_f64 v[2:3], v[50:51], v[2:3], s[16:17]
	s_mov_b32 s16, 0x20d37cd2
	s_mov_b32 s17, 0xbe62c630
	v_fma_f64 v[2:3], v[50:51], v[2:3], s[16:17]
	s_mov_b32 s16, 0x623e8645
	s_mov_b32 s17, 0xbe945878
	v_fma_f64 v[2:3], v[50:51], v[2:3], s[16:17]
	s_mov_b32 s16, 0x2da5fe91
	s_mov_b32 s17, 0x3eb94069
	v_fma_f64 v[2:3], v[50:51], v[2:3], s[16:17]
	s_mov_b32 s16, 0x40233061
	s_mov_b32 s17, 0x3f220c9c
	v_fma_f64 v[2:3], v[50:51], v[2:3], s[16:17]
	s_mov_b32 s16, 0x3517b985
	s_mov_b32 s17, 0x3fa819df
	v_fma_f64 v[2:3], v[50:51], v[2:3], s[16:17]
	s_mov_b32 s16, 0x54ffbc1e
	s_mov_b32 s17, 0xbff7990d
	v_fma_f64 v[2:3], v[50:51], v[2:3], s[16:17]
	s_mov_b32 s16, 0xda1d25dd
	s_mov_b32 s17, 0x402b2415
	v_fma_f64 v[54:55], v[50:51], v[2:3], s[16:17]
	s_mov_b32 s16, 0xfffb841e
	v_mov_b32_e32 v2, 0xeb5d7b7e
	v_mov_b32_e32 v3, 0xbd8113cf
	s_mov_b32 s17, 0x3d3d5f1c
	v_fma_f64 v[2:3], v[50:51], s[16:17], v[2:3]
	s_mov_b32 s16, 0x2c71e7eb
	s_mov_b32 s17, 0x3dc3296c
	v_fma_f64 v[2:3], v[50:51], v[2:3], s[16:17]
	s_mov_b32 s16, 0xbd33a0f0
	;; [unrolled: 32-line block ×3, first 2 shown]
	s_mov_b32 s17, 0xbddf806b
	v_fma_f64 v[2:3], v[50:51], v[2:3], s[16:17]
	s_mov_b32 s16, 0xd588a416
	s_mov_b32 s17, 0x3e1bbfe4
	v_fma_f64 v[2:3], v[50:51], v[2:3], s[16:17]
	s_mov_b32 s16, 0xc94c3bd0
	;; [unrolled: 3-line block ×10, first 2 shown]
	v_mov_b32_e32 v2, 0x659e5e5d
	v_mov_b32_e32 v3, 0x3d628612
	s_mov_b32 s17, 0xbd234c21
	v_fma_f64 v[2:3], v[50:51], s[16:17], v[2:3]
	s_mov_b32 s16, 0x5e39078d
	s_mov_b32 s17, 0xbd9f98d6
	v_fma_f64 v[2:3], v[50:51], v[2:3], s[16:17]
	s_mov_b32 s16, 0xc8cabd83
	;; [unrolled: 3-line block ×13, first 2 shown]
	v_mov_b32_e32 v2, 0x6bd48d15
	v_mov_b32_e32 v3, 0xbd46a1b8
	s_mov_b32 s17, 0x3d076f5c
	v_fma_f64 v[2:3], v[50:51], s[16:17], v[2:3]
	s_mov_b32 s16, 0x26e92723
	s_mov_b32 s17, 0x3d8334e2
	v_fma_f64 v[2:3], v[50:51], v[2:3], s[16:17]
	s_mov_b32 s16, 0x8b205bfb
	;; [unrolled: 3-line block ×14, first 2 shown]
	v_mov_b32_e32 v2, 0x2909fdcd
	v_mov_b32_e32 v3, 0x3d0d9557
	s_mov_b32 s17, 0xbccd6d60
	v_fma_f64 v[2:3], v[50:51], s[16:17], v[2:3]
	s_mov_b32 s16, 0xd35e0577
	s_mov_b32 s17, 0xbd4a225e
	v_fma_f64 v[2:3], v[50:51], v[2:3], s[16:17]
	s_mov_b32 s16, 0x54dbb876
	;; [unrolled: 3-line block ×14, first 2 shown]
	s_mov_b32 s17, 0x3f75fe79
	v_fma_f64 v[58:59], v[50:51], v[2:3], s[16:17]
.LBB0_33:
	s_or_b64 exec, exec, s[4:5]
                                        ; implicit-def: $vgpr50_vgpr51
.LBB0_34:
	s_andn2_saveexec_b64 s[4:5], s[14:15]
	s_cbranch_execz .LBB0_36
; %bb.35:
	s_mov_b32 s14, 0x4c4b2782
	v_mov_b32_e32 v2, 0xceeef7be
	v_mov_b32_e32 v3, 0x3e14f04c
	s_mov_b32 s15, 0xbdc88e73
	v_fma_f64 v[2:3], v[50:51], s[14:15], v[2:3]
	s_mov_b32 s14, 0x3589962d
	s_mov_b32 s15, 0xbe5c3c9a
	v_fma_f64 v[2:3], v[50:51], v[2:3], s[14:15]
	s_mov_b32 s14, 0x806de6de
	;; [unrolled: 3-line block ×7, first 2 shown]
	v_mov_b32_e32 v2, 0xd76cbac1
	v_mov_b32_e32 v3, 0xbe33a3b5
	s_mov_b32 s15, 0x3dea8ab6
	v_fma_f64 v[2:3], v[50:51], s[14:15], v[2:3]
	s_mov_b32 s14, 0xbf3f1436
	s_mov_b32 s15, 0x3e5aaa50
	v_fma_f64 v[2:3], v[50:51], v[2:3], s[14:15]
	s_mov_b32 s14, 0xf7160490
	s_mov_b32 s15, 0x3eb9493b
	v_fma_f64 v[2:3], v[50:51], v[2:3], s[14:15]
	s_mov_b32 s14, 0x903a3c3a
	s_mov_b32 s15, 0xbf0fd69f
	v_fma_f64 v[2:3], v[50:51], v[2:3], s[14:15]
	s_mov_b32 s14, 0x8439ef03
	s_mov_b32 s15, 0x3f568775
	v_fma_f64 v[2:3], v[50:51], v[2:3], s[14:15]
	s_mov_b32 s14, 0x7ac1ac2c
	s_mov_b32 s15, 0xbf968df3
	v_fma_f64 v[2:3], v[50:51], v[2:3], s[14:15]
	s_mov_b32 s14, 0x911e2d9f
	s_mov_b32 s15, 0x3fcd9a4f
	v_fma_f64 v[48:49], v[50:51], v[2:3], s[14:15]
	s_mov_b32 s14, 0xdc0b9945
	v_mov_b32_e32 v2, 0x58e0483e
	v_mov_b32_e32 v3, 0x3e81a7a4
	s_mov_b32 s15, 0x3e34d484
	v_fma_f64 v[2:3], v[50:51], s[14:15], v[2:3]
	s_mov_b32 s14, 0x426d062
	s_mov_b32 s15, 0xbec7358f
	v_fma_f64 v[2:3], v[50:51], v[2:3], s[14:15]
	s_mov_b32 s14, 0xe1d683d5
	;; [unrolled: 3-line block ×6, first 2 shown]
	v_mov_b32_e32 v2, 0xc6786043
	v_mov_b32_e32 v3, 0xbed23938
	s_mov_b32 s15, 0xbe90ae9a
	v_fma_f64 v[2:3], v[50:51], s[14:15], v[2:3]
	s_mov_b32 s14, 0x7f95e8e0
	s_mov_b32 s15, 0xbea9083f
	v_fma_f64 v[2:3], v[50:51], v[2:3], s[14:15]
	s_mov_b32 s14, 0xc1d96d0
	;; [unrolled: 3-line block ×5, first 2 shown]
	v_mov_b32_e32 v2, 0xb8461e0b
	v_mov_b32_e32 v3, 0x3e530947
	s_mov_b32 s15, 0xbe432a32
	v_fma_f64 v[2:3], v[50:51], s[14:15], v[2:3]
	s_mov_b32 s14, 0x90762e0f
	s_mov_b32 s15, 0x3ec981f8
	v_fma_f64 v[2:3], v[50:51], v[2:3], s[14:15]
	s_mov_b32 s14, 0x231b8ea3
	;; [unrolled: 3-line block ×6, first 2 shown]
	v_mov_b32_e32 v2, 0xe8962c67
	v_mov_b32_e32 v3, 0x3e64e3e3
	s_mov_b32 s15, 0xbe21821b
	v_fma_f64 v[2:3], v[50:51], s[14:15], v[2:3]
	s_mov_b32 s14, 0x389b40bf
	s_mov_b32 s15, 0xbea3a061
	v_fma_f64 v[2:3], v[50:51], v[2:3], s[14:15]
	s_mov_b32 s14, 0xda4c23fe
	;; [unrolled: 3-line block ×7, first 2 shown]
	v_mov_b32_e32 v2, 0xe02f210d
	v_mov_b32_e32 v3, 0xbe82a729
	s_mov_b32 s15, 0x3e42878e
	v_fma_f64 v[2:3], v[50:51], s[14:15], v[2:3]
	s_mov_b32 s14, 0xaa862d0d
	s_mov_b32 s15, 0x3ebae460
	v_fma_f64 v[2:3], v[50:51], v[2:3], s[14:15]
	s_mov_b32 s14, 0xeec59c68
	s_mov_b32 s15, 0xbef1436c
	v_fma_f64 v[2:3], v[50:51], v[2:3], s[14:15]
	s_mov_b32 s14, 0xe2a6b054
	s_mov_b32 s15, 0x3f242a2a
	v_fma_f64 v[2:3], v[50:51], v[2:3], s[14:15]
	s_mov_b32 s14, 0x2f9303bd
	s_mov_b32 s15, 0xbf551c50
	v_fma_f64 v[2:3], v[50:51], v[2:3], s[14:15]
	s_mov_b32 s14, 0xddeb36a3
	s_mov_b32 s15, 0x3f833a5d
	v_fma_f64 v[2:3], v[50:51], v[2:3], s[14:15]
	s_mov_b32 s14, 0x93c0183a
	s_mov_b32 s15, 0xbfacc2ce
	v_fma_f64 v[2:3], v[50:51], v[2:3], s[14:15]
	s_mov_b32 s14, 0x7a559b9e
	s_mov_b32 s15, 0x3fd13baa
	v_fma_f64 v[44:45], v[50:51], v[2:3], s[14:15]
	s_mov_b32 s14, 0x47f4f67f
	v_mov_b32_e32 v2, 0xb77b59f1
	v_mov_b32_e32 v3, 0x3e83ca6b
	s_mov_b32 s15, 0xbe443a71
	v_fma_f64 v[2:3], v[50:51], s[14:15], v[2:3]
	s_mov_b32 s14, 0xed4ebe4d
	s_mov_b32 s15, 0xbeba6ab9
	v_fma_f64 v[2:3], v[50:51], v[2:3], s[14:15]
	s_mov_b32 s14, 0x3fd6426b
	s_mov_b32 s15, 0x3eee6de9
	v_fma_f64 v[2:3], v[50:51], v[2:3], s[14:15]
	s_mov_b32 s14, 0x38fc636d
	s_mov_b32 s15, 0xbf1f287b
	v_fma_f64 v[2:3], v[50:51], v[2:3], s[14:15]
	s_mov_b32 s14, 0xccaccc5f
	s_mov_b32 s15, 0x3f4bf955
	v_fma_f64 v[2:3], v[50:51], v[2:3], s[14:15]
	s_mov_b32 s14, 0x6d3645be
	s_mov_b32 s15, 0xbf756ac5
	v_fma_f64 v[2:3], v[50:51], v[2:3], s[14:15]
	s_mov_b32 s14, 0x153a8980
	s_mov_b32 s15, 0x3f9ab625
	v_fma_f64 v[2:3], v[50:51], v[2:3], s[14:15]
	s_mov_b32 s14, 0xe81b4aff
	s_mov_b32 s15, 0xbfb8dc8b
	v_fma_f64 v[2:3], v[50:51], v[2:3], s[14:15]
	s_mov_b32 s14, 0x9d00bbc3
	s_mov_b32 s15, 0x3fcc0b05
	v_fma_f64 v[46:47], v[50:51], v[2:3], s[14:15]
	s_mov_b32 s14, 0x46fe9666
	v_mov_b32_e32 v2, 0x7417eba1
	v_mov_b32_e32 v3, 0x3ea30304
	s_mov_b32 s15, 0xbe64aadf
	v_fma_f64 v[2:3], v[50:51], s[14:15], v[2:3]
	s_mov_b32 s14, 0x14e7bfe6
	;; [unrolled: 29-line block ×3, first 2 shown]
	s_mov_b32 s15, 0x3ea6a0a8
	v_fma_f64 v[2:3], v[50:51], v[2:3], s[14:15]
	s_mov_b32 s14, 0xc8379b4f
	s_mov_b32 s15, 0xbed8d265
	v_fma_f64 v[2:3], v[50:51], v[2:3], s[14:15]
	s_mov_b32 s14, 0xc5db9e3d
	;; [unrolled: 3-line block ×8, first 2 shown]
	s_mov_b32 s15, 0x3fb1115f
	v_fma_f64 v[58:59], v[50:51], v[2:3], s[14:15]
.LBB0_36:
	s_or_b64 exec, exec, s[4:5]
                                        ; implicit-def: $vgpr50_vgpr51
.LBB0_37:
	s_andn2_saveexec_b64 s[4:5], s[12:13]
	s_cbranch_execz .LBB0_39
; %bb.38:
	s_mov_b32 s12, 0x97367277
	v_mov_b32_e32 v2, 0x96777b17
	v_mov_b32_e32 v3, 0x3f9735bc
	s_mov_b32 s13, 0xbf61af09
	v_fma_f64 v[38:39], v[50:51], s[12:13], v[2:3]
	s_mov_b32 s12, 0x7ab464a1
	v_mov_b32_e32 v2, 0x911e2d57
	v_mov_b32_e32 v3, 0x3fcd9a4f
	s_mov_b32 s13, 0xbf968df3
	v_fma_f64 v[48:49], v[50:51], s[12:13], v[2:3]
	;; [unrolled: 5-line block ×10, first 2 shown]
.LBB0_39:
	s_or_b64 exec, exec, s[4:5]
	buffer_store_dword v39, off, s[0:3], s33 offset:68
	buffer_store_dword v38, off, s[0:3], s33 offset:64
	;; [unrolled: 1-line block ×20, first 2 shown]
.LBB0_40:
	s_or_b64 exec, exec, s[10:11]
                                        ; implicit-def: $vgpr50_vgpr51
.LBB0_41:
	s_andn2_saveexec_b64 s[8:9], s[8:9]
	s_cbranch_execz .LBB0_81
; %bb.42:
	buffer_load_dword v2, off, s[0:3], s33 offset:828 ; 4-byte Folded Reload
	s_waitcnt vmcnt(0)
	v_cmp_eq_u32_e32 vcc, 3, v2
	s_and_saveexec_b64 s[10:11], vcc
	s_cbranch_execz .LBB0_80
; %bb.43:
	s_mov_b32 s4, 0xf40d8376
	s_mov_b32 s5, 0x3e9421f5
	v_cmp_ge_f64_e32 vcc, s[4:5], v[50:51]
                                        ; implicit-def: $vgpr46_vgpr47
                                        ; implicit-def: $vgpr44_vgpr45
                                        ; implicit-def: $vgpr41_vgpr42
                                        ; implicit-def: $vgpr56_vgpr57
                                        ; implicit-def: $vgpr52_vgpr53
                                        ; implicit-def: $vgpr58_vgpr59
                                        ; implicit-def: $vgpr36_vgpr37
                                        ; implicit-def: $vgpr38_vgpr39
	s_and_saveexec_b64 s[4:5], vcc
	s_xor_b64 s[4:5], exec, s[4:5]
	s_cbranch_execz .LBB0_45
; %bb.44:
	s_mov_b32 s12, 0xb50b683f
	v_mov_b32_e32 v2, 0xe05c2661
	v_mov_b32_e32 v3, 0x3fa1d3e9
	s_mov_b32 s13, 0xbf70c772
	v_fma_f64 v[38:39], v[50:51], s[12:13], v[2:3]
	s_mov_b32 s12, 0x14031eb8
	v_mov_b32_e32 v2, 0xc54950d9
	v_mov_b32_e32 v3, 0x3fd86b98
	s_mov_b32 s13, 0xbfa6fbdb
	v_fma_f64 v[36:37], v[50:51], s[12:13], v[2:3]
	;; [unrolled: 5-line block ×8, first 2 shown]
                                        ; implicit-def: $vgpr50_vgpr51
.LBB0_45:
	s_andn2_saveexec_b64 s[12:13], s[4:5]
	s_cbranch_execz .LBB0_79
; %bb.46:
	v_cmp_ge_f64_e32 vcc, 1.0, v[50:51]
                                        ; implicit-def: $vgpr46_vgpr47
                                        ; implicit-def: $vgpr44_vgpr45
                                        ; implicit-def: $vgpr41_vgpr42
                                        ; implicit-def: $vgpr56_vgpr57
                                        ; implicit-def: $vgpr52_vgpr53
                                        ; implicit-def: $vgpr58_vgpr59
                                        ; implicit-def: $vgpr36_vgpr37
                                        ; implicit-def: $vgpr38_vgpr39
	s_and_saveexec_b64 s[4:5], vcc
	s_xor_b64 s[4:5], exec, s[4:5]
	s_cbranch_execz .LBB0_48
; %bb.47:
	s_mov_b32 s14, 0x9d85fffc
	v_mov_b32_e32 v2, 0x76bd8a7f
	v_mov_b32_e32 v3, 0x3e3652e2
	s_mov_b32 s15, 0xbdead7d8
	v_fma_f64 v[2:3], v[50:51], s[14:15], v[2:3]
	s_mov_b32 s14, 0x70702f77
	s_mov_b32 s15, 0xbe7b50a6
	v_fma_f64 v[2:3], v[50:51], v[2:3], s[14:15]
	s_mov_b32 s14, 0x81da6a55
	s_mov_b32 s15, 0x3ebceb0f
	v_fma_f64 v[2:3], v[50:51], v[2:3], s[14:15]
	s_mov_b32 s14, 0xf2203ca2
	s_mov_b32 s15, 0xbefb63a0
	v_fma_f64 v[2:3], v[50:51], v[2:3], s[14:15]
	s_mov_b32 s14, 0x7aaeb23b
	s_mov_b32 s15, 0x3f372109
	v_fma_f64 v[2:3], v[50:51], v[2:3], s[14:15]
	s_mov_b32 s14, 0xb50b0fe3
	s_mov_b32 s15, 0xbf70c772
	v_fma_f64 v[2:3], v[50:51], v[2:3], s[14:15]
	s_mov_b32 s14, 0xe05c2644
	s_mov_b32 s15, 0x3fa1d3e9
	v_fma_f64 v[38:39], v[50:51], v[2:3], s[14:15]
	s_mov_b32 s14, 0xe5438f94
	v_mov_b32_e32 v2, 0xd7c8d099
	v_mov_b32_e32 v3, 0x3e94a43c
	s_mov_b32 s15, 0xbe545a71
	v_fma_f64 v[2:3], v[50:51], s[14:15], v[2:3]
	s_mov_b32 s14, 0x32168329
	s_mov_b32 s15, 0x3eb552d3
	v_fma_f64 v[2:3], v[50:51], v[2:3], s[14:15]
	s_mov_b32 s14, 0x3234424f
	s_mov_b32 s15, 0xbf2293aa
	v_fma_f64 v[2:3], v[50:51], v[2:3], s[14:15]
	s_mov_b32 s14, 0x3f101794
	s_mov_b32 s15, 0x3f6a6f77
	v_fma_f64 v[2:3], v[50:51], v[2:3], s[14:15]
	s_mov_b32 s14, 0x1407d6c1
	s_mov_b32 s15, 0xbfa6fbdb
	v_fma_f64 v[2:3], v[50:51], v[2:3], s[14:15]
	s_mov_b32 s14, 0xc54950a3
	s_mov_b32 s15, 0x3fd86b98
	v_fma_f64 v[36:37], v[50:51], v[2:3], s[14:15]
	s_mov_b32 s14, 0x61bd7af1
	v_mov_b32_e32 v2, 0xefdfc5fa
	v_mov_b32_e32 v3, 0x3e621129
	s_mov_b32 s15, 0x3e1e74e1
	v_fma_f64 v[2:3], v[50:51], s[14:15], v[2:3]
	s_mov_b32 s14, 0xf734861
	s_mov_b32 s15, 0xbe915646
	v_fma_f64 v[2:3], v[50:51], v[2:3], s[14:15]
	s_mov_b32 s14, 0x8d7f7a06
	s_mov_b32 s15, 0xbee7d543
	v_fma_f64 v[2:3], v[50:51], v[2:3], s[14:15]
	s_mov_b32 s14, 0xe3f849c1
	s_mov_b32 s15, 0xbf14bfff
	v_fma_f64 v[2:3], v[50:51], v[2:3], s[14:15]
	s_mov_b32 s14, 0xaa590a67
	s_mov_b32 s15, 0x3f854376
	v_fma_f64 v[2:3], v[50:51], v[2:3], s[14:15]
	s_mov_b32 s14, 0xf5bb798d
	s_mov_b32 s15, 0xbfca296b
	v_fma_f64 v[2:3], v[50:51], v[2:3], s[14:15]
	s_mov_b32 s14, 0xb516dd27
	s_mov_b32 s15, 0x3ffbcc02
	v_fma_f64 v[58:59], v[50:51], v[2:3], s[14:15]
	s_mov_b32 s14, 0xd8589085
	v_mov_b32_e32 v2, 0xde201477
	v_mov_b32_e32 v3, 0xbe90be0b
	s_mov_b32 s15, 0xbe6e20eb
	v_fma_f64 v[2:3], v[50:51], s[14:15], v[2:3]
	s_mov_b32 s14, 0x8b4cb716
	s_mov_b32 s15, 0x3eccc30b
	v_fma_f64 v[2:3], v[50:51], v[2:3], s[14:15]
	s_mov_b32 s14, 0x6be0ad34
	s_mov_b32 s15, 0x3f2601d0
	v_fma_f64 v[2:3], v[50:51], v[2:3], s[14:15]
	s_mov_b32 s14, 0x5db0026d
	s_mov_b32 s15, 0x3fa82e57
	v_fma_f64 v[2:3], v[50:51], v[2:3], s[14:15]
	s_mov_b32 s14, 0x904a15c2
	s_mov_b32 s15, 0xbff64c86
	v_fma_f64 v[2:3], v[50:51], v[2:3], s[14:15]
	s_mov_b32 s14, 0xf9527c50
	s_mov_b32 s15, 0x4027b14e
	v_fma_f64 v[52:53], v[50:51], v[2:3], s[14:15]
	;; [unrolled: 43-line block ×3, first 2 shown]
	s_mov_b32 s14, 0xd4b77643
	s_mov_b32 s15, 0x3f93a61e
	v_fma_f64 v[2:3], v[50:51], v[2:3], s[14:15]
	s_mov_b32 s14, 0x94362a61
	s_mov_b32 s15, 0xbfb6fd6f
	v_fma_f64 v[2:3], v[50:51], v[2:3], s[14:15]
	;; [unrolled: 3-line block ×3, first 2 shown]
	s_mov_b32 s14, 0x4f804dda
	v_mov_b32_e32 v2, 0x4518e97f
	v_mov_b32_e32 v3, 0x3ea10526
	s_mov_b32 s15, 0xbe625821
	v_fma_f64 v[2:3], v[50:51], s[14:15], v[2:3]
	s_mov_b32 s14, 0x778e679e
	s_mov_b32 s15, 0xbed50ab3
	v_fma_f64 v[2:3], v[50:51], v[2:3], s[14:15]
	s_mov_b32 s14, 0xb75b6a64
	;; [unrolled: 3-line block ×9, first 2 shown]
	v_mov_b32_e32 v2, 0x68d3e601
	v_mov_b32_e32 v3, 0xbe75545a
	s_mov_b32 s15, 0x3e3575d3
	v_fma_f64 v[2:3], v[50:51], s[14:15], v[2:3]
	s_mov_b32 s14, 0x765b434a
	s_mov_b32 s15, 0x3eac0c63
	v_fma_f64 v[2:3], v[50:51], v[2:3], s[14:15]
	s_mov_b32 s14, 0x502c7011
	;; [unrolled: 3-line block ×9, first 2 shown]
	s_mov_b32 s15, 0x3fb9ea1d
	v_fma_f64 v[46:47], v[50:51], v[2:3], s[14:15]
                                        ; implicit-def: $vgpr50_vgpr51
.LBB0_48:
	s_andn2_saveexec_b64 s[14:15], s[4:5]
	s_cbranch_execz .LBB0_78
; %bb.49:
	s_mov_b32 s4, 0
	s_mov_b32 s5, 0x40140000
	v_cmp_ge_f64_e32 vcc, s[4:5], v[50:51]
                                        ; implicit-def: $vgpr46_vgpr47
                                        ; implicit-def: $vgpr44_vgpr45
                                        ; implicit-def: $vgpr41_vgpr42
                                        ; implicit-def: $vgpr56_vgpr57
                                        ; implicit-def: $vgpr52_vgpr53
                                        ; implicit-def: $vgpr58_vgpr59
                                        ; implicit-def: $vgpr36_vgpr37
                                        ; implicit-def: $vgpr38_vgpr39
	s_and_saveexec_b64 s[4:5], vcc
	s_xor_b64 s[4:5], exec, s[4:5]
	s_cbranch_execz .LBB0_51
; %bb.50:
	s_mov_b32 s16, 0
	s_mov_b32 s17, 0xc0080000
	v_add_f64 v[50:51], v[50:51], s[16:17]
	s_mov_b32 s16, 0x73ef1aa8
	v_mov_b32_e32 v2, 0x16f3fad2
	v_mov_b32_e32 v3, 0xbd42c1ab
	s_mov_b32 s17, 0xbcdac39c
	v_fma_f64 v[2:3], v[50:51], s[16:17], v[2:3]
	s_mov_b32 s16, 0xe14cfada
	s_mov_b32 s17, 0x3d91e4c5
	v_fma_f64 v[2:3], v[50:51], v[2:3], s[16:17]
	s_mov_b32 s16, 0xe87f0a1f
	s_mov_b32 s17, 0xbdd93000
	v_fma_f64 v[2:3], v[50:51], v[2:3], s[16:17]
	s_mov_b32 s16, 0xabb6c6ca
	s_mov_b32 s17, 0x3e219500
	v_fma_f64 v[2:3], v[50:51], v[2:3], s[16:17]
	s_mov_b32 s16, 0x18a80bc3
	s_mov_b32 s17, 0xbe65a3d7
	v_fma_f64 v[2:3], v[50:51], v[2:3], s[16:17]
	s_mov_b32 s16, 0xe17c5cbf
	s_mov_b32 s17, 0x3ea8798f
	v_fma_f64 v[2:3], v[50:51], v[2:3], s[16:17]
	s_mov_b32 s16, 0xbb52739a
	s_mov_b32 s17, 0xbee9d1d9
	v_fma_f64 v[2:3], v[50:51], v[2:3], s[16:17]
	s_mov_b32 s16, 0x48bb1113
	s_mov_b32 s17, 0x3f28bef6
	v_fma_f64 v[2:3], v[50:51], v[2:3], s[16:17]
	s_mov_b32 s16, 0xe7d9937a
	s_mov_b32 s17, 0xbf64bf4e
	v_fma_f64 v[2:3], v[50:51], v[2:3], s[16:17]
	s_mov_b32 s16, 0xd0ce077a
	s_mov_b32 s17, 0x3f99b902
	v_fma_f64 v[38:39], v[50:51], v[2:3], s[16:17]
	s_mov_b32 s16, 0x16525ec
	v_mov_b32_e32 v2, 0xe497324a
	v_mov_b32_e32 v3, 0xbd843604
	s_mov_b32 s17, 0x3d431dd0
	v_fma_f64 v[2:3], v[50:51], s[16:17], v[2:3]
	s_mov_b32 s16, 0x6b5bd8d9
	s_mov_b32 s17, 0xbd90cea0
	v_fma_f64 v[2:3], v[50:51], v[2:3], s[16:17]
	s_mov_b32 s16, 0x5130e4c4
	s_mov_b32 s17, 0x3e07846b
	v_fma_f64 v[2:3], v[50:51], v[2:3], s[16:17]
	s_mov_b32 s16, 0x9d0c785
	s_mov_b32 s17, 0xbe4681ca
	v_fma_f64 v[2:3], v[50:51], v[2:3], s[16:17]
	s_mov_b32 s16, 0x88a357e9
	s_mov_b32 s17, 0x3e501d74
	v_fma_f64 v[2:3], v[50:51], v[2:3], s[16:17]
	s_mov_b32 s16, 0x5794e156
	s_mov_b32 s17, 0x3ecd4379
	v_fma_f64 v[2:3], v[50:51], v[2:3], s[16:17]
	s_mov_b32 s16, 0xb27e6328
	s_mov_b32 s17, 0xbf1c7e57
	v_fma_f64 v[2:3], v[50:51], v[2:3], s[16:17]
	s_mov_b32 s16, 0xf299baff
	s_mov_b32 s17, 0x3f610b19
	v_fma_f64 v[2:3], v[50:51], v[2:3], s[16:17]
	s_mov_b32 s16, 0x1431be7c
	s_mov_b32 s17, 0xbf9dd1c9
	v_fma_f64 v[2:3], v[50:51], v[2:3], s[16:17]
	s_mov_b32 s16, 0x5e7c239f
	s_mov_b32 s17, 0x3fd16cfa
	v_fma_f64 v[36:37], v[50:51], v[2:3], s[16:17]
	;; [unrolled: 32-line block ×5, first 2 shown]
	s_mov_b32 s16, 0x12c49f80
	s_mov_b32 s17, 0x3fd28db3
	v_fma_f64 v[56:57], v[50:51], v[2:3], s[16:17]
	s_mov_b32 s16, 0xb929d25
	v_mov_b32_e32 v2, 0x7464b23a
	v_mov_b32_e32 v3, 0x3d4fc1b0
	s_mov_b32 s17, 0xbd107a1c
	v_fma_f64 v[2:3], v[50:51], s[16:17], v[2:3]
	s_mov_b32 s16, 0xd4be3196
	s_mov_b32 s17, 0xbd8b6930
	v_fma_f64 v[2:3], v[50:51], v[2:3], s[16:17]
	s_mov_b32 s16, 0xbbb72df0
	;; [unrolled: 3-line block ×13, first 2 shown]
	v_mov_b32_e32 v2, 0xe80b5ba2
	v_mov_b32_e32 v3, 0xbd43c788
	s_mov_b32 s17, 0x3d046b6a
	v_fma_f64 v[2:3], v[50:51], s[16:17], v[2:3]
	s_mov_b32 s16, 0xd63d76dd
	s_mov_b32 s17, 0x3d80e1cf
	v_fma_f64 v[2:3], v[50:51], v[2:3], s[16:17]
	s_mov_b32 s16, 0x228c4445
	s_mov_b32 s17, 0xbdbca4ce
	v_fma_f64 v[2:3], v[50:51], v[2:3], s[16:17]
	s_mov_b32 s16, 0x64396fcc
	s_mov_b32 s17, 0x3df6acde
	v_fma_f64 v[2:3], v[50:51], v[2:3], s[16:17]
	s_mov_b32 s16, 0x3947d825
	s_mov_b32 s17, 0xbe309802
	v_fma_f64 v[2:3], v[50:51], v[2:3], s[16:17]
	s_mov_b32 s16, 0x3f85cd9e
	s_mov_b32 s17, 0x3e66591d
	v_fma_f64 v[2:3], v[50:51], v[2:3], s[16:17]
	s_mov_b32 s16, 0x98501698
	s_mov_b32 s17, 0xbe9b7a84
	v_fma_f64 v[2:3], v[50:51], v[2:3], s[16:17]
	s_mov_b32 s16, 0xf6613800
	s_mov_b32 s17, 0x3ece893e
	v_fma_f64 v[2:3], v[50:51], v[2:3], s[16:17]
	s_mov_b32 s16, 0xd415e2a9
	s_mov_b32 s17, 0xbefe44cb
	v_fma_f64 v[2:3], v[50:51], v[2:3], s[16:17]
	s_mov_b32 s16, 0xc6d27831
	s_mov_b32 s17, 0x3f2a4831
	v_fma_f64 v[2:3], v[50:51], v[2:3], s[16:17]
	s_mov_b32 s16, 0x47cfe6cc
	s_mov_b32 s17, 0xbf53767e
	v_fma_f64 v[2:3], v[50:51], v[2:3], s[16:17]
	s_mov_b32 s16, 0x2eed2b86
	s_mov_b32 s17, 0x3f778fa8
	v_fma_f64 v[2:3], v[50:51], v[2:3], s[16:17]
	s_mov_b32 s16, 0x6c28b17a
	s_mov_b32 s17, 0xbf95714e
	v_fma_f64 v[2:3], v[50:51], v[2:3], s[16:17]
	s_mov_b32 s16, 0xa5b47061
	s_mov_b32 s17, 0x3fa8d9d3
	v_fma_f64 v[44:45], v[50:51], v[2:3], s[16:17]
	s_mov_b32 s16, 0xaf46b5bf
	v_mov_b32_e32 v2, 0xcdf599fb
	v_mov_b32_e32 v3, 0x3d11c5eb
	s_mov_b32 s17, 0xbcd18fa2
	v_fma_f64 v[2:3], v[50:51], s[16:17], v[2:3]
	s_mov_b32 s16, 0xf8b17c62
	s_mov_b32 s17, 0xbd4faa74
	v_fma_f64 v[2:3], v[50:51], v[2:3], s[16:17]
	s_mov_b32 s16, 0x3d18a4de
	;; [unrolled: 3-line block ×14, first 2 shown]
	s_mov_b32 s17, 0x3f83c906
	v_fma_f64 v[46:47], v[50:51], v[2:3], s[16:17]
                                        ; implicit-def: $vgpr50_vgpr51
.LBB0_51:
	s_andn2_saveexec_b64 s[16:17], s[4:5]
	s_cbranch_execz .LBB0_77
; %bb.52:
	s_mov_b32 s4, 0
	s_mov_b32 s5, 0x40240000
	v_cmp_ge_f64_e32 vcc, s[4:5], v[50:51]
                                        ; implicit-def: $vgpr46_vgpr47
                                        ; implicit-def: $vgpr44_vgpr45
                                        ; implicit-def: $vgpr41_vgpr42
                                        ; implicit-def: $vgpr56_vgpr57
                                        ; implicit-def: $vgpr52_vgpr53
                                        ; implicit-def: $vgpr58_vgpr59
                                        ; implicit-def: $vgpr36_vgpr37
                                        ; implicit-def: $vgpr38_vgpr39
	s_and_saveexec_b64 s[4:5], vcc
	s_xor_b64 s[4:5], exec, s[4:5]
	s_cbranch_execz .LBB0_54
; %bb.53:
	s_mov_b32 s18, 0
	s_mov_b32 s19, 0xc01e0000
	v_add_f64 v[50:51], v[50:51], s[18:19]
	s_mov_b32 s18, 0xb96ca4e1
	v_mov_b32_e32 v2, 0x379449e6
	v_mov_b32_e32 v3, 0xbcfc471b
	s_mov_b32 s19, 0x3cf4e80f
	v_fma_f64 v[2:3], v[50:51], s[18:19], v[2:3]
	s_mov_b32 s18, 0xb212e494
	s_mov_b32 s19, 0x3d585d02
	v_fma_f64 v[2:3], v[50:51], v[2:3], s[18:19]
	s_mov_b32 s18, 0x85d0e282
	s_mov_b32 s19, 0xbdc017b5
	v_fma_f64 v[2:3], v[50:51], v[2:3], s[18:19]
	s_mov_b32 s18, 0x20b46e8f
	s_mov_b32 s19, 0x3e017d86
	v_fma_f64 v[2:3], v[50:51], v[2:3], s[18:19]
	s_mov_b32 s18, 0x7d148c01
	s_mov_b32 s19, 0xbe456a90
	v_fma_f64 v[2:3], v[50:51], v[2:3], s[18:19]
	s_mov_b32 s18, 0x626886ed
	s_mov_b32 s19, 0x3e8febf5
	v_fma_f64 v[2:3], v[50:51], v[2:3], s[18:19]
	s_mov_b32 s18, 0xd8dcb6c0
	s_mov_b32 s19, 0xbed34e73
	v_fma_f64 v[2:3], v[50:51], v[2:3], s[18:19]
	s_mov_b32 s18, 0xf51716df
	s_mov_b32 s19, 0x3f161818
	v_fma_f64 v[2:3], v[50:51], v[2:3], s[18:19]
	s_mov_b32 s18, 0x10610d72
	s_mov_b32 s19, 0xbf569b6e
	v_fma_f64 v[2:3], v[50:51], v[2:3], s[18:19]
	s_mov_b32 s18, 0xcfc3e782
	s_mov_b32 s19, 0x3f911020
	v_fma_f64 v[38:39], v[50:51], v[2:3], s[18:19]
	s_mov_b32 s18, 0xed042746
	v_mov_b32_e32 v2, 0xb67383fc
	v_mov_b32_e32 v3, 0x3d6dd2d2
	s_mov_b32 s19, 0x3d208cb6
	v_fma_f64 v[2:3], v[50:51], s[18:19], v[2:3]
	s_mov_b32 s18, 0xed268d58
	s_mov_b32 s19, 0xbdafce06
	v_fma_f64 v[2:3], v[50:51], v[2:3], s[18:19]
	s_mov_b32 s18, 0x6b39c22f
	s_mov_b32 s19, 0xbd9b0b55
	v_fma_f64 v[2:3], v[50:51], v[2:3], s[18:19]
	s_mov_b32 s18, 0x5c746a4
	s_mov_b32 s19, 0x3e0d26d9
	v_fma_f64 v[2:3], v[50:51], v[2:3], s[18:19]
	s_mov_b32 s18, 0x955d1440
	s_mov_b32 s19, 0xbe706610
	v_fma_f64 v[2:3], v[50:51], v[2:3], s[18:19]
	s_mov_b32 s18, 0x8765a0fb
	s_mov_b32 s19, 0x3ec40fd6
	v_fma_f64 v[2:3], v[50:51], v[2:3], s[18:19]
	s_mov_b32 s18, 0x385dc043
	s_mov_b32 s19, 0xbf0c17e2
	v_fma_f64 v[2:3], v[50:51], v[2:3], s[18:19]
	s_mov_b32 s18, 0x60b4c9b7
	s_mov_b32 s19, 0x3f508ae3
	v_fma_f64 v[2:3], v[50:51], v[2:3], s[18:19]
	s_mov_b32 s18, 0xf6f32141
	s_mov_b32 s19, 0xbf9027d3
	v_fma_f64 v[2:3], v[50:51], v[2:3], s[18:19]
	s_mov_b32 s18, 0x2617036f
	s_mov_b32 s19, 0x3fc6619c
	v_fma_f64 v[36:37], v[50:51], v[2:3], s[18:19]
	;; [unrolled: 32-line block ×3, first 2 shown]
	s_mov_b32 s18, 0xc0a93a7d
	s_mov_b32 s19, 0x3fe70bed
	v_fma_f64 v[58:59], v[50:51], v[2:3], s[18:19]
	s_mov_b32 s18, 0x1f1730cf
	v_mov_b32_e32 v2, 0x51e5a9ff
	v_mov_b32_e32 v3, 0x3d6b0e07
	s_mov_b32 s19, 0xbd124374
	v_fma_f64 v[2:3], v[50:51], s[18:19], v[2:3]
	s_mov_b32 s18, 0x6dff15b4
	s_mov_b32 s19, 0x3d9959b4
	v_fma_f64 v[2:3], v[50:51], v[2:3], s[18:19]
	s_mov_b32 s18, 0xb9328db2
	;; [unrolled: 3-line block ×12, first 2 shown]
	v_mov_b32_e32 v2, 0x943bf4a1
	v_mov_b32_e32 v3, 0x3d337939
	s_mov_b32 s19, 0xbcdde72b
	v_fma_f64 v[2:3], v[50:51], s[18:19], v[2:3]
	s_mov_b32 s18, 0x6261858e
	s_mov_b32 s19, 0xbd701056
	v_fma_f64 v[2:3], v[50:51], v[2:3], s[18:19]
	s_mov_b32 s18, 0xb7847367
	;; [unrolled: 3-line block ×11, first 2 shown]
	v_mov_b32_e32 v2, 0x431b4ca0
	v_mov_b32_e32 v3, 0x3cfc2ded
	s_mov_b32 s19, 0xbcb9be14
	v_fma_f64 v[2:3], v[50:51], s[18:19], v[2:3]
	s_mov_b32 s18, 0x2dde47eb
	s_mov_b32 s19, 0xbd3b2ea0
	v_fma_f64 v[2:3], v[50:51], v[2:3], s[18:19]
	s_mov_b32 s18, 0xde28b0e4
	;; [unrolled: 3-line block ×13, first 2 shown]
	v_mov_b32_e32 v2, 0xa7f481ca
	v_mov_b32_e32 v3, 0xbce82f78
	s_mov_b32 s19, 0x3ca7bdec
	v_fma_f64 v[2:3], v[50:51], s[18:19], v[2:3]
	s_mov_b32 s18, 0xeded0231
	s_mov_b32 s19, 0x3d25545d
	v_fma_f64 v[2:3], v[50:51], v[2:3], s[18:19]
	s_mov_b32 s18, 0x20c6b4c3
	;; [unrolled: 3-line block ×14, first 2 shown]
	v_mov_b32_e32 v2, 0x403745f
	v_mov_b32_e32 v3, 0x3cb28863
	s_mov_b32 s19, 0xbc71f3de
	v_fma_f64 v[2:3], v[50:51], s[18:19], v[2:3]
	s_mov_b32 s18, 0x5b5b95d9
	s_mov_b32 s19, 0xbcf05531
	v_fma_f64 v[2:3], v[50:51], v[2:3], s[18:19]
	s_mov_b32 s18, 0x37a1331c
	;; [unrolled: 3-line block ×14, first 2 shown]
	s_mov_b32 s19, 0x3f4140f8
	v_fma_f64 v[46:47], v[50:51], v[2:3], s[18:19]
                                        ; implicit-def: $vgpr50_vgpr51
.LBB0_54:
	s_andn2_saveexec_b64 s[18:19], s[4:5]
	s_cbranch_execz .LBB0_76
; %bb.55:
	s_mov_b32 s4, 0
	s_mov_b32 s5, 0x402e0000
	v_cmp_ge_f64_e32 vcc, s[4:5], v[50:51]
                                        ; implicit-def: $vgpr46_vgpr47
                                        ; implicit-def: $vgpr44_vgpr45
                                        ; implicit-def: $vgpr41_vgpr42
                                        ; implicit-def: $vgpr56_vgpr57
                                        ; implicit-def: $vgpr52_vgpr53
                                        ; implicit-def: $vgpr58_vgpr59
                                        ; implicit-def: $vgpr36_vgpr37
                                        ; implicit-def: $vgpr38_vgpr39
	s_and_saveexec_b64 s[4:5], vcc
	s_xor_b64 s[4:5], exec, s[4:5]
	s_cbranch_execz .LBB0_57
; %bb.56:
	s_mov_b32 s20, 0
	s_mov_b32 s21, 0xc0290000
	v_add_f64 v[41:42], v[50:51], s[20:21]
	s_mov_b32 s20, 0x936c32ff
	v_mov_b32_e32 v2, 0x328c27bd
	v_mov_b32_e32 v3, 0x3cccf39d
	s_mov_b32 s21, 0x3c8c86fc
	v_mov_b32_e32 v11, 0x100
	v_fma_f64 v[2:3], v[41:42], s[20:21], v[2:3]
	s_mov_b32 s20, 0x48e701c6
	s_mov_b32 s21, 0xbcf9375a
	v_fma_f64 v[2:3], v[41:42], v[2:3], s[20:21]
	s_mov_b32 s20, 0xfbffcf3e
	s_mov_b32 s21, 0xbd43673c
	;; [unrolled: 3-line block ×11, first 2 shown]
	v_fma_f64 v[38:39], v[41:42], v[2:3], s[20:21]
	s_mov_b32 s20, 0x2f2cdc3f
	v_mov_b32_e32 v2, 0xf1625bc4
	v_mov_b32_e32 v3, 0x3d07f4fa
	s_mov_b32 s21, 0x3cc1a04c
	v_fma_f64 v[2:3], v[41:42], s[20:21], v[2:3]
	s_mov_b32 s20, 0x5ae5bc67
	s_mov_b32 s21, 0xbd2ea8e3
	v_fma_f64 v[2:3], v[41:42], v[2:3], s[20:21]
	s_mov_b32 s20, 0xd99b7863
	;; [unrolled: 3-line block ×12, first 2 shown]
	v_mov_b32_e32 v2, 0xc229b703
	v_mov_b32_e32 v3, 0x3d3f9e25
	s_mov_b32 s21, 0x3d313cf2
	v_fma_f64 v[2:3], v[41:42], s[20:21], v[2:3]
	s_mov_b32 s20, 0x21032b7a
	s_mov_b32 s21, 0xbda3e750
	v_fma_f64 v[2:3], v[41:42], v[2:3], s[20:21]
	s_mov_b32 s20, 0x1fcfb25f
	;; [unrolled: 3-line block ×11, first 2 shown]
	v_mov_b32_e32 v2, 0x725ffee7
	v_mov_b32_e32 v3, 0xbd2a9d26
	s_mov_b32 s21, 0x3d2a1682
	v_fma_f64 v[2:3], v[41:42], s[20:21], v[2:3]
	s_mov_b32 s20, 0xbdaf84d2
	s_mov_b32 s21, 0xbda60858
	v_fma_f64 v[2:3], v[41:42], v[2:3], s[20:21]
	s_mov_b32 s20, 0xf864f1fa
	;; [unrolled: 3-line block ×12, first 2 shown]
	v_mov_b32_e32 v2, 0xb9f3d158
	v_mov_b32_e32 v3, 0xbc8ab66c
	s_mov_b32 s21, 0x3c4ac8eb
	v_fma_f64 v[2:3], v[41:42], s[20:21], v[2:3]
	s_mov_b32 s20, 0xa9a26937
	s_mov_b32 s21, 0x3cc69ac2
	v_fma_f64 v[2:3], v[41:42], v[2:3], s[20:21]
	s_mov_b32 s20, 0x29cb45e0
	;; [unrolled: 3-line block ×14, first 2 shown]
	v_mov_b32_e32 v2, 0x84a0c460
	v_mov_b32_e32 v3, 0x3cc569db
	s_mov_b32 s21, 0xbc882fbf
	v_fma_f64 v[2:3], v[41:42], s[20:21], v[2:3]
	s_mov_b32 s20, 0xf9e12faa
	s_mov_b32 s21, 0xbd09de5d
	v_fma_f64 v[2:3], v[41:42], v[2:3], s[20:21]
	s_mov_b32 s20, 0xa2d91270
	;; [unrolled: 3-line block ×13, first 2 shown]
	v_mov_b32_e32 v2, 0x9be51d6e
	v_mov_b32_e32 v3, 0x3d3d4f20
	s_mov_b32 s21, 0xbcfc0650
	v_fma_f64 v[2:3], v[41:42], s[20:21], v[2:3]
	s_mov_b32 s20, 0x39716841
	s_mov_b32 s21, 0xbd68131a
	v_fma_f64 v[2:3], v[41:42], v[2:3], s[20:21]
	s_mov_b32 s20, 0x36bc0b49
	;; [unrolled: 3-line block ×11, first 2 shown]
	s_mov_b32 s21, 0xbfc80b5d
	v_div_scale_f64 v[2:3], s[22:23], v[50:51], v[50:51], s[20:21]
	v_rcp_f64_e32 v[16:17], v[2:3]
	v_fma_f64 v[30:31], -v[2:3], v[16:17], 1.0
	v_fma_f64 v[16:17], v[16:17], v[30:31], v[16:17]
	v_fma_f64 v[30:31], -v[2:3], v[16:17], 1.0
	v_fma_f64 v[16:17], v[16:17], v[30:31], v[16:17]
	v_div_scale_f64 v[30:31], vcc, s[20:21], v[50:51], s[20:21]
	v_mul_f64 v[32:33], v[30:31], v[16:17]
	v_fma_f64 v[2:3], -v[2:3], v[32:33], v[30:31]
	s_nop 1
	v_div_fmas_f64 v[2:3], v[2:3], v[16:17], v[32:33]
	v_div_fixup_f64 v[2:3], v[2:3], v[50:51], s[20:21]
	s_mov_b32 s20, 0x1930dd58
	s_mov_b32 s21, 0x3fcd6df8
	v_add_f64 v[54:55], v[2:3], s[20:21]
	v_div_scale_f64 v[56:57], s[20:21], v[50:51], v[50:51], v[54:55]
	s_mov_b32 s20, 0xa84e6e89
	s_mov_b32 s21, 0xbfdfee97
	v_rcp_f64_e32 v[2:3], v[56:57]
	v_fma_f64 v[16:17], -v[56:57], v[2:3], 1.0
	v_fma_f64 v[2:3], v[2:3], v[16:17], v[2:3]
	v_fma_f64 v[16:17], -v[56:57], v[2:3], 1.0
	v_fma_f64 v[2:3], v[2:3], v[16:17], v[2:3]
	v_div_scale_f64 v[16:17], vcc, v[54:55], v[50:51], v[54:55]
	v_mul_f64 v[30:31], v[16:17], v[2:3]
	v_fma_f64 v[16:17], -v[56:57], v[30:31], v[16:17]
	s_nop 1
	v_div_fmas_f64 v[2:3], v[16:17], v[2:3], v[30:31]
	v_div_fixup_f64 v[2:3], v[2:3], v[50:51], v[54:55]
	v_add_f64 v[2:3], v[2:3], s[20:21]
	v_div_scale_f64 v[16:17], s[20:21], v[50:51], v[50:51], v[2:3]
	s_mov_b32 s20, 0x3edd2a8f
	s_mov_b32 s21, 0xbef6fb2b
	v_rcp_f64_e32 v[30:31], v[16:17]
	v_fma_f64 v[32:33], -v[16:17], v[30:31], 1.0
	v_fma_f64 v[30:31], v[30:31], v[32:33], v[30:31]
	v_fma_f64 v[32:33], -v[16:17], v[30:31], 1.0
	v_fma_f64 v[30:31], v[30:31], v[32:33], v[30:31]
	v_div_scale_f64 v[32:33], vcc, v[2:3], v[50:51], v[2:3]
	v_mul_f64 v[34:35], v[32:33], v[30:31]
	v_fma_f64 v[16:17], -v[16:17], v[34:35], v[32:33]
	s_nop 1
	v_div_fmas_f64 v[16:17], v[16:17], v[30:31], v[34:35]
	v_mov_b32_e32 v30, 0xfca7ab0c
	v_mov_b32_e32 v31, 0x3e928af3
	v_div_fixup_f64 v[2:3], v[16:17], v[50:51], v[2:3]
	v_add_f64 v[0:1], v[2:3], s[20:21]
	s_mov_b32 s20, 0x652b82fe
	s_mov_b32 s21, 0xbff71547
	v_mul_f64 v[2:3], v[50:51], s[20:21]
	s_mov_b32 s20, 0xfefa39ef
	s_mov_b32 s21, 0xbfe62e42
	v_rndne_f64_e32 v[2:3], v[2:3]
	v_fma_f64 v[16:17], v[2:3], s[20:21], -v[50:51]
	s_mov_b32 s20, 0x3b39803f
	s_mov_b32 s21, 0xbc7abc9e
	v_fma_f64 v[16:17], v[2:3], s[20:21], v[16:17]
	s_mov_b32 s20, 0x6a5dcb37
	s_mov_b32 s21, 0x3e5ade15
	v_cvt_i32_f64_e32 v2, v[2:3]
	v_fma_f64 v[30:31], v[16:17], s[20:21], v[30:31]
	s_mov_b32 s20, 0x623fde64
	s_mov_b32 s21, 0x3ec71dee
	v_fma_f64 v[30:31], v[16:17], v[30:31], s[20:21]
	s_mov_b32 s20, 0x7c89e6b0
	s_mov_b32 s21, 0x3efa0199
	v_fma_f64 v[30:31], v[16:17], v[30:31], s[20:21]
	s_mov_b32 s20, 0x14761f6e
	s_mov_b32 s21, 0x3f2a01a0
	v_fma_f64 v[30:31], v[16:17], v[30:31], s[20:21]
	s_mov_b32 s20, 0x1852b7b0
	s_mov_b32 s21, 0x3f56c16c
	v_fma_f64 v[30:31], v[16:17], v[30:31], s[20:21]
	s_mov_b32 s20, 0x11122322
	s_mov_b32 s21, 0x3f811111
	v_fma_f64 v[30:31], v[16:17], v[30:31], s[20:21]
	s_mov_b32 s20, 0x555502a1
	s_mov_b32 s21, 0x3fa55555
	v_fma_f64 v[30:31], v[16:17], v[30:31], s[20:21]
	s_mov_b32 s20, 0x55555511
	s_mov_b32 s21, 0x3fc55555
	v_fma_f64 v[30:31], v[16:17], v[30:31], s[20:21]
	s_mov_b32 s20, 11
	s_mov_b32 s21, 0x3fe00000
	v_fma_f64 v[30:31], v[16:17], v[30:31], s[20:21]
	s_mov_b32 s20, 0x54442d15
	s_mov_b32 s21, 0x3fe921fb
	v_div_scale_f64 v[54:55], s[22:23], v[50:51], v[50:51], s[20:21]
	v_fma_f64 v[30:31], v[16:17], v[30:31], 1.0
	v_fma_f64 v[16:17], v[16:17], v[30:31], 1.0
	v_ldexp_f64 v[56:57], v[16:17], v2
	v_rcp_f64_e32 v[2:3], v[54:55]
	v_fma_f64 v[16:17], -v[54:55], v[2:3], 1.0
	v_fma_f64 v[2:3], v[2:3], v[16:17], v[2:3]
	v_fma_f64 v[16:17], -v[54:55], v[2:3], 1.0
	v_fma_f64 v[2:3], v[2:3], v[16:17], v[2:3]
	v_div_scale_f64 v[16:17], vcc, s[20:21], v[50:51], s[20:21]
	v_mul_f64 v[30:31], v[16:17], v[2:3]
	v_fma_f64 v[16:17], -v[54:55], v[30:31], v[16:17]
	s_nop 1
	v_div_fmas_f64 v[2:3], v[16:17], v[2:3], v[30:31]
	v_div_fixup_f64 v[2:3], v[2:3], v[50:51], s[20:21]
	s_mov_b32 s20, 0
	s_brev_b32 s21, 8
	v_cmp_gt_f64_e32 vcc, s[20:21], v[2:3]
	v_cndmask_b32_e32 v11, 0, v11, vcc
	v_ldexp_f64 v[50:51], v[2:3], v11
	v_mov_b32_e32 v11, 0xffffff80
	v_cndmask_b32_e32 v11, 0, v11, vcc
	v_rsq_f64_e32 v[2:3], v[50:51]
	v_mul_f64 v[16:17], v[50:51], v[2:3]
	v_mul_f64 v[2:3], v[2:3], 0.5
	v_fma_f64 v[30:31], -v[2:3], v[16:17], 0.5
	v_fma_f64 v[16:17], v[16:17], v[30:31], v[16:17]
	v_fma_f64 v[2:3], v[2:3], v[30:31], v[2:3]
	v_fma_f64 v[32:33], -v[16:17], v[16:17], v[50:51]
	v_fma_f64 v[16:17], v[32:33], v[2:3], v[16:17]
	v_fma_f64 v[30:31], -v[16:17], v[16:17], v[50:51]
	v_fma_f64 v[2:3], v[30:31], v[2:3], v[16:17]
	v_ldexp_f64 v[54:55], v[2:3], v11
	v_mov_b32_e32 v11, 0x260
	v_cmp_class_f64_e32 vcc, v[50:51], v11
	v_cndmask_b32_e32 v3, v55, v51, vcc
	v_cndmask_b32_e32 v2, v54, v50, vcc
	v_fma_f64 v[2:3], v[0:1], v[56:57], v[2:3]
                                        ; implicit-def: $vgpr50_vgpr51
	v_add_f64 v[2:3], v[2:3], -v[46:47]
	v_add_f64 v[2:3], v[2:3], -v[44:45]
	;; [unrolled: 1-line block ×3, first 2 shown]
.LBB0_57:
	s_andn2_saveexec_b64 s[20:21], s[4:5]
	s_cbranch_execz .LBB0_75
; %bb.58:
	s_mov_b32 s4, 0
	s_mov_b32 s5, 0x40340000
	v_cmp_ge_f64_e32 vcc, s[4:5], v[50:51]
                                        ; implicit-def: $vgpr46_vgpr47
                                        ; implicit-def: $vgpr44_vgpr45
                                        ; implicit-def: $vgpr41_vgpr42
                                        ; implicit-def: $vgpr56_vgpr57
                                        ; implicit-def: $vgpr52_vgpr53
                                        ; implicit-def: $vgpr58_vgpr59
                                        ; implicit-def: $vgpr36_vgpr37
                                        ; implicit-def: $vgpr38_vgpr39
	s_and_saveexec_b64 s[4:5], vcc
	s_xor_b64 s[4:5], exec, s[4:5]
	s_cbranch_execz .LBB0_60
; %bb.59:
	s_mov_b32 s22, 0x54442d15
	s_mov_b32 s23, 0x3fe921fb
	v_div_scale_f64 v[2:3], s[24:25], v[50:51], v[50:51], s[22:23]
	v_mov_b32_e32 v11, 0x100
	v_rcp_f64_e32 v[16:17], v[2:3]
	v_fma_f64 v[30:31], -v[2:3], v[16:17], 1.0
	v_fma_f64 v[16:17], v[16:17], v[30:31], v[16:17]
	v_fma_f64 v[30:31], -v[2:3], v[16:17], 1.0
	v_fma_f64 v[16:17], v[16:17], v[30:31], v[16:17]
	v_div_scale_f64 v[30:31], vcc, s[22:23], v[50:51], s[22:23]
	v_mul_f64 v[32:33], v[30:31], v[16:17]
	v_fma_f64 v[2:3], -v[2:3], v[32:33], v[30:31]
	s_nop 1
	v_div_fmas_f64 v[2:3], v[2:3], v[16:17], v[32:33]
	v_div_fixup_f64 v[2:3], v[2:3], v[50:51], s[22:23]
	s_mov_b32 s22, 0
	s_brev_b32 s23, 8
	v_cmp_gt_f64_e32 vcc, s[22:23], v[2:3]
	s_mov_b32 s22, 0
	s_mov_b32 s23, 0xc0318000
	v_add_f64 v[41:42], v[50:51], s[22:23]
	s_mov_b32 s22, 0x9a0e0f07
	s_mov_b32 s23, 0x3c892c94
	v_cndmask_b32_e32 v11, 0, v11, vcc
	v_ldexp_f64 v[2:3], v[2:3], v11
	v_mov_b32_e32 v11, 0xffffff80
	v_cndmask_b32_e32 v11, 0, v11, vcc
	v_rsq_f64_e32 v[16:17], v[2:3]
	v_mul_f64 v[30:31], v[2:3], v[16:17]
	v_mul_f64 v[16:17], v[16:17], 0.5
	v_fma_f64 v[32:33], -v[16:17], v[30:31], 0.5
	v_fma_f64 v[30:31], v[30:31], v[32:33], v[30:31]
	v_fma_f64 v[16:17], v[16:17], v[32:33], v[16:17]
	v_fma_f64 v[34:35], -v[30:31], v[30:31], v[2:3]
	v_fma_f64 v[30:31], v[34:35], v[16:17], v[30:31]
	v_fma_f64 v[32:33], -v[30:31], v[30:31], v[2:3]
	v_fma_f64 v[16:17], v[32:33], v[16:17], v[30:31]
	v_ldexp_f64 v[16:17], v[16:17], v11
	v_mov_b32_e32 v11, 0x260
	v_cmp_class_f64_e32 vcc, v[2:3], v11
	v_cndmask_b32_e32 v1, v17, v3, vcc
	v_cndmask_b32_e32 v0, v16, v2, vcc
	v_mov_b32_e32 v2, 0x3b3efd91
	v_mov_b32_e32 v3, 0xbca043d2
	v_fma_f64 v[2:3], v[41:42], s[22:23], v[2:3]
	s_mov_b32 s22, 0x1914b161
	s_mov_b32 s23, 0xbcfbb24b
	v_fma_f64 v[2:3], v[41:42], v[2:3], s[22:23]
	s_mov_b32 s22, 0x39566f7e
	s_mov_b32 s23, 0x3d3061eb
	v_fma_f64 v[2:3], v[41:42], v[2:3], s[22:23]
	s_mov_b32 s22, 0x330c2342
	s_mov_b32 s23, 0x3d5ef037
	v_fma_f64 v[2:3], v[41:42], v[2:3], s[22:23]
	s_mov_b32 s22, 0x65ee2f0a
	s_mov_b32 s23, 0xbdab572d
	v_fma_f64 v[2:3], v[41:42], v[2:3], s[22:23]
	s_mov_b32 s22, 0x8371e47a
	s_mov_b32 s23, 0x3dd27254
	v_fma_f64 v[2:3], v[41:42], v[2:3], s[22:23]
	s_mov_b32 s22, 0x3f80e0fb
	s_mov_b32 s23, 0x3df0c21f
	v_fma_f64 v[2:3], v[41:42], v[2:3], s[22:23]
	s_mov_b32 s22, 0xc59c3d44
	s_mov_b32 s23, 0x3e51fdd7
	v_fma_f64 v[2:3], v[41:42], v[2:3], s[22:23]
	s_mov_b32 s22, 0xf1a3d3fd
	s_mov_b32 s23, 0xbeaf4c29
	v_fma_f64 v[2:3], v[41:42], v[2:3], s[22:23]
	s_mov_b32 s22, 0xffc4948c
	s_mov_b32 s23, 0x3ef9106c
	v_fma_f64 v[2:3], v[41:42], v[2:3], s[22:23]
	s_mov_b32 s22, 0xb87bd65f
	s_mov_b32 s23, 0xbf3eb69c
	v_fma_f64 v[2:3], v[41:42], v[2:3], s[22:23]
	s_mov_b32 s22, 0x337716bf
	s_mov_b32 s23, 0x3f8119b0
	v_fma_f64 v[38:39], v[41:42], v[2:3], s[22:23]
	s_mov_b32 s22, 0x59ba863c
	v_mov_b32_e32 v2, 0x981b2925
	v_mov_b32_e32 v3, 0xbcb2c9aa
	s_mov_b32 s23, 0x3cc1f9a9
	v_fma_f64 v[2:3], v[41:42], s[22:23], v[2:3]
	s_mov_b32 s22, 0x35f4923d
	s_mov_b32 s23, 0xbd35e297
	v_fma_f64 v[2:3], v[41:42], v[2:3], s[22:23]
	s_mov_b32 s22, 0x5759b54f
	s_mov_b32 s23, 0x3d6449a5
	v_fma_f64 v[2:3], v[41:42], v[2:3], s[22:23]
	s_mov_b32 s22, 0x99195019
	s_mov_b32 s23, 0x3d9c4a92
	v_fma_f64 v[2:3], v[41:42], v[2:3], s[22:23]
	s_mov_b32 s22, 0xf7340b9d
	s_mov_b32 s23, 0xbde32ebd
	v_fma_f64 v[2:3], v[41:42], v[2:3], s[22:23]
	s_mov_b32 s22, 0x87d875e3
	s_mov_b32 s23, 0x3e0475a5
	v_fma_f64 v[2:3], v[41:42], v[2:3], s[22:23]
	s_mov_b32 s22, 0xdfdfa6c1
	s_mov_b32 s23, 0x3e24d400
	v_fma_f64 v[2:3], v[41:42], v[2:3], s[22:23]
	s_mov_b32 s22, 0xa9feb998
	s_mov_b32 s23, 0x3e909bc5
	v_fma_f64 v[2:3], v[41:42], v[2:3], s[22:23]
	s_mov_b32 s22, 0xb6dd03ff
	s_mov_b32 s23, 0xbee80e77
	v_fma_f64 v[2:3], v[41:42], v[2:3], s[22:23]
	s_mov_b32 s22, 0x6af742f4
	s_mov_b32 s23, 0x3f31c6dc
	v_fma_f64 v[2:3], v[41:42], v[2:3], s[22:23]
	s_mov_b32 s22, 0x8f4e8d24
	s_mov_b32 s23, 0xbf745975
	v_fma_f64 v[2:3], v[41:42], v[2:3], s[22:23]
	s_mov_b32 s22, 0x9b2718ff
	s_mov_b32 s23, 0x3fb52568
	v_fma_f64 v[36:37], v[41:42], v[2:3], s[22:23]
	s_mov_b32 s22, 0x74e4f6e6
	v_mov_b32_e32 v2, 0x43c1bb52
	v_mov_b32_e32 v3, 0x3d10c208
	s_mov_b32 s23, 0x3ce13fa6
	;; [unrolled: 38-line block ×4, first 2 shown]
	v_fma_f64 v[2:3], v[41:42], s[22:23], v[2:3]
	s_mov_b32 s22, 0xfa22987c
	s_mov_b32 s23, 0xbca0adbf
	v_fma_f64 v[2:3], v[41:42], v[2:3], s[22:23]
	s_mov_b32 s22, 0x4ecd8a72
	s_mov_b32 s23, 0x3ce5b7d6
	;; [unrolled: 3-line block ×12, first 2 shown]
	v_fma_f64 v[46:47], v[41:42], v[2:3], s[22:23]
	s_mov_b32 s22, 0xcf441341
	v_mov_b32_e32 v2, 0x48262558
	v_mov_b32_e32 v3, 0x3cb35d88
	s_mov_b32 s23, 0xbc8ff640
	v_fma_f64 v[2:3], v[41:42], s[22:23], v[2:3]
	s_mov_b32 s22, 0x3cc7f543
	s_mov_b32 s23, 0x3d0e6092
	v_fma_f64 v[2:3], v[41:42], v[2:3], s[22:23]
	s_mov_b32 s22, 0x7fa9cc7e
	;; [unrolled: 3-line block ×12, first 2 shown]
	v_mov_b32_e32 v2, 0x577756a9
	v_mov_b32_e32 v3, 0x3cd5040b
	s_mov_b32 s23, 0xbcaae0db
	v_fma_f64 v[2:3], v[41:42], s[22:23], v[2:3]
	s_mov_b32 s22, 0x32956878
	s_mov_b32 s23, 0x3d1cdd66
	v_fma_f64 v[2:3], v[41:42], v[2:3], s[22:23]
	s_mov_b32 s22, 0x3bf33b8f
	;; [unrolled: 3-line block ×12, first 2 shown]
	s_mov_b32 s23, 0x3fc91e26
	v_div_scale_f64 v[56:57], s[24:25], v[50:51], v[50:51], s[22:23]
	v_rcp_f64_e32 v[2:3], v[56:57]
	v_fma_f64 v[16:17], -v[56:57], v[2:3], 1.0
	v_fma_f64 v[2:3], v[2:3], v[16:17], v[2:3]
	v_fma_f64 v[16:17], -v[56:57], v[2:3], 1.0
	v_fma_f64 v[54:55], v[2:3], v[16:17], v[2:3]
	v_div_scale_f64 v[2:3], vcc, s[22:23], v[50:51], s[22:23]
	v_mul_f64 v[16:17], v[2:3], v[54:55]
	v_fma_f64 v[2:3], -v[56:57], v[16:17], v[2:3]
	s_nop 1
	v_div_fmas_f64 v[2:3], v[2:3], v[54:55], v[16:17]
	v_div_fixup_f64 v[2:3], v[2:3], v[50:51], s[22:23]
	s_mov_b32 s22, 0x80245b5f
	s_mov_b32 s23, 0xbfdfce11
	v_add_f64 v[2:3], v[2:3], s[22:23]
	v_div_scale_f64 v[16:17], s[22:23], v[50:51], v[50:51], v[2:3]
	s_mov_b32 s22, 0x6403a8cf
	s_mov_b32 s23, 0xbf0f8a14
	v_rcp_f64_e32 v[30:31], v[16:17]
	v_fma_f64 v[32:33], -v[16:17], v[30:31], 1.0
	v_fma_f64 v[30:31], v[30:31], v[32:33], v[30:31]
	v_fma_f64 v[32:33], -v[16:17], v[30:31], 1.0
	v_fma_f64 v[30:31], v[30:31], v[32:33], v[30:31]
	v_div_scale_f64 v[32:33], vcc, v[2:3], v[50:51], v[2:3]
	v_mul_f64 v[34:35], v[32:33], v[30:31]
	v_fma_f64 v[16:17], -v[16:17], v[34:35], v[32:33]
	s_nop 1
	v_div_fmas_f64 v[16:17], v[16:17], v[30:31], v[34:35]
	v_div_fixup_f64 v[2:3], v[16:17], v[50:51], v[2:3]
	v_add_f64 v[16:17], v[2:3], s[22:23]
	s_mov_b32 s22, 0x652b82fe
	s_mov_b32 s23, 0xbff71547
	v_mul_f64 v[2:3], v[50:51], s[22:23]
	s_mov_b32 s22, 0xfefa39ef
	s_mov_b32 s23, 0xbfe62e42
	v_rndne_f64_e32 v[56:57], v[2:3]
	v_fma_f64 v[2:3], v[56:57], s[22:23], -v[50:51]
	s_mov_b32 s22, 0x3b39803f
	s_mov_b32 s23, 0xbc7abc9e
	v_cvt_i32_f64_e32 v11, v[56:57]
	v_fma_f64 v[50:51], v[56:57], s[22:23], v[2:3]
	s_mov_b32 s22, 0x6a5dcb37
	v_mov_b32_e32 v2, 0xfca7ab0c
	v_mov_b32_e32 v3, 0x3e928af3
	s_mov_b32 s23, 0x3e5ade15
	v_fma_f64 v[2:3], v[50:51], s[22:23], v[2:3]
	s_mov_b32 s22, 0x623fde64
	s_mov_b32 s23, 0x3ec71dee
	v_fma_f64 v[2:3], v[50:51], v[2:3], s[22:23]
	s_mov_b32 s22, 0x7c89e6b0
	;; [unrolled: 3-line block ×8, first 2 shown]
	s_mov_b32 s23, 0x3fe00000
	v_fma_f64 v[2:3], v[50:51], v[2:3], s[22:23]
	v_fma_f64 v[2:3], v[50:51], v[2:3], 1.0
	v_fma_f64 v[2:3], v[50:51], v[2:3], 1.0
                                        ; implicit-def: $vgpr50_vgpr51
	v_ldexp_f64 v[2:3], v[2:3], v11
	v_fma_f64 v[2:3], v[16:17], v[2:3], v[0:1]
	v_add_f64 v[2:3], v[2:3], -v[41:42]
	v_add_f64 v[2:3], v[2:3], -v[44:45]
	;; [unrolled: 1-line block ×3, first 2 shown]
.LBB0_60:
	s_andn2_saveexec_b64 s[22:23], s[4:5]
	s_cbranch_execz .LBB0_74
; %bb.61:
	s_mov_b32 s4, 0
	s_mov_b32 s5, 0x40418000
	v_cmp_ge_f64_e32 vcc, s[4:5], v[50:51]
                                        ; implicit-def: $vgpr46_vgpr47
                                        ; implicit-def: $vgpr44_vgpr45
                                        ; implicit-def: $vgpr41_vgpr42
                                        ; implicit-def: $vgpr56_vgpr57
                                        ; implicit-def: $vgpr52_vgpr53
                                        ; implicit-def: $vgpr58_vgpr59
                                        ; implicit-def: $vgpr36_vgpr37
                                        ; implicit-def: $vgpr38_vgpr39
	s_and_saveexec_b64 s[4:5], vcc
	s_xor_b64 s[4:5], exec, s[4:5]
	s_cbranch_execz .LBB0_67
; %bb.62:
	s_mov_b32 s24, 0
	s_mov_b32 s25, 0x40390000
	v_cmp_ge_f64_e32 vcc, s[24:25], v[50:51]
                                        ; implicit-def: $vgpr41_vgpr42
	s_and_saveexec_b64 s[24:25], vcc
	s_xor_b64 s[24:25], exec, s[24:25]
	s_cbranch_execz .LBB0_64
; %bb.63:
	s_mov_b32 s26, 0x4cdb917b
	v_mov_b32_e32 v2, 0x71d9123d
	v_mov_b32_e32 v3, 0xbf0400fb
	s_mov_b32 s27, 0x3e8f6025
	v_fma_f64 v[2:3], v[50:51], s[26:27], v[2:3]
	s_mov_b32 s26, 0x831bb559
	s_mov_b32 s27, 0x3f6cc9bd
	v_fma_f64 v[2:3], v[50:51], v[2:3], s[26:27]
	s_mov_b32 s26, 0xcbd73d1d
	;; [unrolled: 3-line block ×6, first 2 shown]
	s_mov_b32 s27, 0x40d03606
	v_div_scale_f64 v[2:3], s[28:29], v[50:51], v[50:51], s[26:27]
	v_rcp_f64_e32 v[16:17], v[2:3]
	v_fma_f64 v[30:31], -v[2:3], v[16:17], 1.0
	v_fma_f64 v[16:17], v[16:17], v[30:31], v[16:17]
	v_fma_f64 v[30:31], -v[2:3], v[16:17], 1.0
	v_fma_f64 v[16:17], v[16:17], v[30:31], v[16:17]
	v_div_scale_f64 v[30:31], vcc, s[26:27], v[50:51], s[26:27]
	v_mul_f64 v[32:33], v[30:31], v[16:17]
	v_fma_f64 v[2:3], -v[2:3], v[32:33], v[30:31]
	s_nop 1
	v_div_fmas_f64 v[2:3], v[2:3], v[16:17], v[32:33]
	v_div_fixup_f64 v[2:3], v[2:3], v[50:51], s[26:27]
	s_mov_b32 s26, 0x6c1bb060
	s_mov_b32 s27, 0xc0b800ca
	v_fma_f64 v[2:3], v[50:51], v[52:53], v[2:3]
	v_add_f64 v[41:42], v[2:3], s[26:27]
.LBB0_64:
	s_andn2_saveexec_b64 s[24:25], s[24:25]
	s_cbranch_execz .LBB0_66
; %bb.65:
	s_mov_b32 s26, 0x3c3a8062
	v_mov_b32_e32 v2, 0x6624dbe0
	v_mov_b32_e32 v3, 0xbf13e3ca
	s_mov_b32 s27, 0x3ed815eb
	v_fma_f64 v[2:3], v[50:51], s[26:27], v[2:3]
	s_mov_b32 s26, 0x79524e87
	s_mov_b32 s27, 0x3f2ecfbc
	v_fma_f64 v[2:3], v[50:51], v[2:3], s[26:27]
	s_mov_b32 s26, 0x289cd2a5
	;; [unrolled: 3-line block ×5, first 2 shown]
	s_mov_b32 s27, 0x404bc3cf
	v_fma_f64 v[41:42], v[50:51], v[2:3], s[26:27]
.LBB0_66:
	s_or_b64 exec, exec, s[24:25]
	s_mov_b32 s24, 0x54442d15
	s_mov_b32 s25, 0x3fe921fb
	v_div_scale_f64 v[2:3], s[26:27], v[50:51], v[50:51], s[24:25]
	v_mov_b32_e32 v11, 0x100
	v_rcp_f64_e32 v[16:17], v[2:3]
	v_fma_f64 v[30:31], -v[2:3], v[16:17], 1.0
	v_fma_f64 v[16:17], v[16:17], v[30:31], v[16:17]
	v_fma_f64 v[30:31], -v[2:3], v[16:17], 1.0
	v_fma_f64 v[16:17], v[16:17], v[30:31], v[16:17]
	v_div_scale_f64 v[30:31], vcc, s[24:25], v[50:51], s[24:25]
	v_mul_f64 v[32:33], v[30:31], v[16:17]
	v_fma_f64 v[2:3], -v[2:3], v[32:33], v[30:31]
	s_nop 1
	v_div_fmas_f64 v[2:3], v[2:3], v[16:17], v[32:33]
	v_div_fixup_f64 v[2:3], v[2:3], v[50:51], s[24:25]
	s_mov_b32 s24, 0
	s_brev_b32 s25, 8
	v_cmp_gt_f64_e32 vcc, s[24:25], v[2:3]
	s_mov_b32 s24, 0x652b82fe
	s_mov_b32 s25, 0xbff71547
	v_cndmask_b32_e32 v11, 0, v11, vcc
	v_ldexp_f64 v[2:3], v[2:3], v11
	v_mov_b32_e32 v11, 0xffffff80
	v_cndmask_b32_e32 v11, 0, v11, vcc
	v_rsq_f64_e32 v[16:17], v[2:3]
	v_mul_f64 v[30:31], v[2:3], v[16:17]
	v_mul_f64 v[16:17], v[16:17], 0.5
	v_fma_f64 v[32:33], -v[16:17], v[30:31], 0.5
	v_fma_f64 v[30:31], v[30:31], v[32:33], v[30:31]
	v_fma_f64 v[16:17], v[16:17], v[32:33], v[16:17]
	v_fma_f64 v[34:35], -v[30:31], v[30:31], v[2:3]
	v_fma_f64 v[30:31], v[34:35], v[16:17], v[30:31]
	v_fma_f64 v[32:33], -v[30:31], v[30:31], v[2:3]
	v_fma_f64 v[16:17], v[32:33], v[16:17], v[30:31]
	v_mov_b32_e32 v30, 0xfca7ab0c
	v_mov_b32_e32 v31, 0x3e928af3
	v_ldexp_f64 v[16:17], v[16:17], v11
	v_mov_b32_e32 v11, 0x260
	v_cmp_class_f64_e32 vcc, v[2:3], v11
	v_cndmask_b32_e32 v1, v17, v3, vcc
	v_cndmask_b32_e32 v0, v16, v2, vcc
	v_mul_f64 v[2:3], v[50:51], s[24:25]
	s_mov_b32 s24, 0xfefa39ef
	s_mov_b32 s25, 0xbfe62e42
	v_mov_b32_e32 v44, v1
	v_mov_b32_e32 v43, v0
	v_rndne_f64_e32 v[2:3], v[2:3]
	v_fma_f64 v[16:17], v[2:3], s[24:25], -v[50:51]
	s_mov_b32 s24, 0x3b39803f
	s_mov_b32 s25, 0xbc7abc9e
	v_fma_f64 v[16:17], v[2:3], s[24:25], v[16:17]
	s_mov_b32 s24, 0x6a5dcb37
	s_mov_b32 s25, 0x3e5ade15
	v_cvt_i32_f64_e32 v2, v[2:3]
	v_mov_b32_e32 v3, 0x3f54d9ff
	v_fma_f64 v[30:31], v[16:17], s[24:25], v[30:31]
	s_mov_b32 s24, 0x623fde64
	s_mov_b32 s25, 0x3ec71dee
	v_fma_f64 v[30:31], v[16:17], v[30:31], s[24:25]
	s_mov_b32 s24, 0x7c89e6b0
	s_mov_b32 s25, 0x3efa0199
	;; [unrolled: 3-line block ×9, first 2 shown]
	v_fma_f64 v[30:31], v[16:17], v[30:31], 1.0
	v_fma_f64 v[16:17], v[16:17], v[30:31], 1.0
	v_ldexp_f64 v[0:1], v[16:17], v2
	v_mov_b32_e32 v2, 0x470dc5ef
	v_fma_f64 v[2:3], v[50:51], s[24:25], v[2:3]
	s_mov_b32 s24, 0x48e0f48f
	s_mov_b32 s25, 0xbfce548a
	v_fma_f64 v[2:3], v[50:51], v[2:3], s[24:25]
	s_mov_b32 s24, 0xcc9d5bf4
	s_mov_b32 s25, 0x402eddba
	;; [unrolled: 3-line block ×5, first 2 shown]
	v_div_scale_f64 v[2:3], s[26:27], v[50:51], v[50:51], s[24:25]
	v_rcp_f64_e32 v[16:17], v[2:3]
	v_fma_f64 v[30:31], -v[2:3], v[16:17], 1.0
	v_fma_f64 v[16:17], v[16:17], v[30:31], v[16:17]
	v_fma_f64 v[30:31], -v[2:3], v[16:17], 1.0
	v_fma_f64 v[16:17], v[16:17], v[30:31], v[16:17]
	v_div_scale_f64 v[30:31], vcc, s[24:25], v[50:51], s[24:25]
	v_mul_f64 v[32:33], v[30:31], v[16:17]
	v_fma_f64 v[2:3], -v[2:3], v[32:33], v[30:31]
	s_nop 1
	v_div_fmas_f64 v[2:3], v[2:3], v[16:17], v[32:33]
	v_div_fixup_f64 v[2:3], v[2:3], v[50:51], s[24:25]
	s_mov_b32 s24, 0xbf42f4bf
	s_mov_b32 s25, 0x412aa41e
	v_add_f64 v[2:3], v[2:3], s[24:25]
	v_div_scale_f64 v[16:17], s[24:25], v[50:51], v[50:51], v[2:3]
	s_mov_b32 s24, 0x1e414e3a
	s_mov_b32 s25, 0xc0ff8aa6
	v_rcp_f64_e32 v[30:31], v[16:17]
	v_fma_f64 v[32:33], -v[16:17], v[30:31], 1.0
	v_fma_f64 v[30:31], v[30:31], v[32:33], v[30:31]
	v_fma_f64 v[32:33], -v[16:17], v[30:31], 1.0
	v_fma_f64 v[30:31], v[30:31], v[32:33], v[30:31]
	v_div_scale_f64 v[32:33], vcc, v[2:3], v[50:51], v[2:3]
	v_mul_f64 v[34:35], v[32:33], v[30:31]
	v_fma_f64 v[16:17], -v[16:17], v[34:35], v[32:33]
	s_nop 1
	v_div_fmas_f64 v[16:17], v[16:17], v[30:31], v[34:35]
	v_div_fixup_f64 v[2:3], v[16:17], v[50:51], v[2:3]
	v_fma_f64 v[2:3], v[50:51], v[52:53], v[2:3]
	v_add_f64 v[2:3], v[2:3], s[24:25]
	s_mov_b32 s25, 0xbfc2994e
	s_mov_b32 s24, 0x486cd916
	v_add_f64 v[16:17], v[50:51], s[24:25]
	s_mov_b32 s25, 0x3fc2994e
	v_div_scale_f64 v[30:31], s[26:27], v[16:17], v[16:17], s[24:25]
	v_rcp_f64_e32 v[32:33], v[30:31]
	v_fma_f64 v[34:35], -v[30:31], v[32:33], 1.0
	v_fma_f64 v[32:33], v[32:33], v[34:35], v[32:33]
	v_fma_f64 v[34:35], -v[30:31], v[32:33], 1.0
	v_fma_f64 v[32:33], v[32:33], v[34:35], v[32:33]
	v_div_scale_f64 v[34:35], vcc, s[24:25], v[16:17], s[24:25]
	v_mul_f64 v[36:37], v[34:35], v[32:33]
	v_fma_f64 v[30:31], -v[30:31], v[36:37], v[34:35]
	s_nop 1
	v_div_fmas_f64 v[30:31], v[30:31], v[32:33], v[36:37]
	v_div_fixup_f64 v[16:17], v[30:31], v[16:17], s[24:25]
	s_mov_b32 s24, 0x3c19a9e1
	s_mov_b32 s25, 0xbfb41c9f
	v_fma_f64 v[38:39], v[2:3], v[0:1], v[16:17]
	v_mov_b32_e32 v2, 0xb4241f23
	v_mov_b32_e32 v3, 0x40196d17
	v_fma_f64 v[2:3], v[50:51], s[24:25], v[2:3]
	s_mov_b32 s24, 0x42dc8407
	s_mov_b32 s25, 0xc07524c0
	v_fma_f64 v[2:3], v[50:51], v[2:3], s[24:25]
	s_mov_b32 s24, 0x58a4f161
	s_mov_b32 s25, 0x40c87006
	;; [unrolled: 3-line block ×4, first 2 shown]
	v_div_scale_f64 v[2:3], s[26:27], v[50:51], v[50:51], s[24:25]
	v_rcp_f64_e32 v[16:17], v[2:3]
	v_fma_f64 v[30:31], -v[2:3], v[16:17], 1.0
	v_fma_f64 v[16:17], v[16:17], v[30:31], v[16:17]
	v_fma_f64 v[30:31], -v[2:3], v[16:17], 1.0
	v_fma_f64 v[16:17], v[16:17], v[30:31], v[16:17]
	v_div_scale_f64 v[30:31], vcc, s[24:25], v[50:51], s[24:25]
	v_mul_f64 v[32:33], v[30:31], v[16:17]
	v_fma_f64 v[2:3], -v[2:3], v[32:33], v[30:31]
	s_nop 1
	v_div_fmas_f64 v[2:3], v[2:3], v[16:17], v[32:33]
	v_div_fixup_f64 v[2:3], v[2:3], v[50:51], s[24:25]
	s_mov_b32 s24, 0x894b0319
	s_mov_b32 s25, 0x41b60f59
	v_add_f64 v[2:3], v[2:3], s[24:25]
	v_div_scale_f64 v[16:17], s[24:25], v[50:51], v[50:51], v[2:3]
	s_mov_b32 s24, 0xe41336fa
	s_mov_b32 s25, 0xc18bfefa
	v_rcp_f64_e32 v[30:31], v[16:17]
	v_fma_f64 v[32:33], -v[16:17], v[30:31], 1.0
	v_fma_f64 v[30:31], v[30:31], v[32:33], v[30:31]
	v_fma_f64 v[32:33], -v[16:17], v[30:31], 1.0
	v_fma_f64 v[30:31], v[30:31], v[32:33], v[30:31]
	v_div_scale_f64 v[32:33], vcc, v[2:3], v[50:51], v[2:3]
	v_mul_f64 v[34:35], v[32:33], v[30:31]
	v_fma_f64 v[16:17], -v[16:17], v[34:35], v[32:33]
	s_nop 1
	v_div_fmas_f64 v[16:17], v[16:17], v[30:31], v[34:35]
	v_div_fixup_f64 v[2:3], v[16:17], v[50:51], v[2:3]
	v_add_f64 v[2:3], v[2:3], s[24:25]
	v_div_scale_f64 v[16:17], s[24:25], v[50:51], v[50:51], v[2:3]
	s_mov_b32 s24, 0x874a6681
	s_mov_b32 s25, 0x41548be7
	v_rcp_f64_e32 v[30:31], v[16:17]
	v_fma_f64 v[32:33], -v[16:17], v[30:31], 1.0
	v_fma_f64 v[30:31], v[30:31], v[32:33], v[30:31]
	v_fma_f64 v[32:33], -v[16:17], v[30:31], 1.0
	v_fma_f64 v[30:31], v[30:31], v[32:33], v[30:31]
	v_div_scale_f64 v[32:33], vcc, v[2:3], v[50:51], v[2:3]
	v_mul_f64 v[34:35], v[32:33], v[30:31]
	v_fma_f64 v[16:17], -v[16:17], v[34:35], v[32:33]
	s_nop 1
	v_div_fmas_f64 v[16:17], v[16:17], v[30:31], v[34:35]
	v_div_fixup_f64 v[2:3], v[16:17], v[50:51], v[2:3]
	v_fma_f64 v[2:3], v[50:51], v[52:53], v[2:3]
	v_add_f64 v[2:3], v[2:3], s[24:25]
	s_mov_b32 s25, 0xbff56cf1
	s_mov_b32 s24, 0x472aa3dd
	v_add_f64 v[16:17], v[50:51], s[24:25]
	s_mov_b32 s25, 0x3ff56cf1
	v_div_scale_f64 v[30:31], s[26:27], v[16:17], v[16:17], s[24:25]
	v_rcp_f64_e32 v[32:33], v[30:31]
	v_fma_f64 v[34:35], -v[30:31], v[32:33], 1.0
	v_fma_f64 v[32:33], v[32:33], v[34:35], v[32:33]
	v_fma_f64 v[34:35], -v[30:31], v[32:33], 1.0
	v_fma_f64 v[32:33], v[32:33], v[34:35], v[32:33]
	v_div_scale_f64 v[34:35], vcc, s[24:25], v[16:17], s[24:25]
	v_mul_f64 v[36:37], v[34:35], v[32:33]
	v_fma_f64 v[30:31], -v[30:31], v[36:37], v[34:35]
	s_nop 1
	v_div_fmas_f64 v[30:31], v[30:31], v[32:33], v[36:37]
	v_div_fixup_f64 v[16:17], v[30:31], v[16:17], s[24:25]
	s_mov_b32 s24, 0xe97f996d
	s_mov_b32 s25, 0xbfce7385
	v_fma_f64 v[48:49], v[2:3], v[0:1], v[16:17]
	v_mov_b32_e32 v2, 0x25cefe33
	v_mov_b32_e32 v3, 0x40326987
	v_fma_f64 v[2:3], v[50:51], s[24:25], v[2:3]
	s_mov_b32 s24, 0xfa23cf3d
	s_mov_b32 s25, 0xc08f500e
	v_fma_f64 v[2:3], v[50:51], v[2:3], s[24:25]
	s_mov_b32 s24, 0xe4a29e3b
	s_mov_b32 s25, 0x40e25165
	;; [unrolled: 3-line block ×4, first 2 shown]
	v_div_scale_f64 v[2:3], s[26:27], v[50:51], v[50:51], s[24:25]
	v_rcp_f64_e32 v[16:17], v[2:3]
	v_fma_f64 v[30:31], -v[2:3], v[16:17], 1.0
	v_fma_f64 v[16:17], v[16:17], v[30:31], v[16:17]
	v_fma_f64 v[30:31], -v[2:3], v[16:17], 1.0
	v_fma_f64 v[16:17], v[16:17], v[30:31], v[16:17]
	v_div_scale_f64 v[30:31], vcc, s[24:25], v[50:51], s[24:25]
	v_mul_f64 v[32:33], v[30:31], v[16:17]
	v_fma_f64 v[2:3], -v[2:3], v[32:33], v[30:31]
	s_nop 1
	v_div_fmas_f64 v[2:3], v[2:3], v[16:17], v[32:33]
	v_div_fixup_f64 v[2:3], v[2:3], v[50:51], s[24:25]
	s_mov_b32 s24, 0x6738fe48
	s_mov_b32 s25, 0x41cfc6e9
	v_add_f64 v[2:3], v[2:3], s[24:25]
	v_div_scale_f64 v[16:17], s[24:25], v[50:51], v[50:51], v[2:3]
	s_mov_b32 s24, 0x135ff25e
	s_mov_b32 s25, 0xc1a48f39
	v_rcp_f64_e32 v[30:31], v[16:17]
	v_fma_f64 v[32:33], -v[16:17], v[30:31], 1.0
	v_fma_f64 v[30:31], v[30:31], v[32:33], v[30:31]
	v_fma_f64 v[32:33], -v[16:17], v[30:31], 1.0
	v_fma_f64 v[30:31], v[30:31], v[32:33], v[30:31]
	v_div_scale_f64 v[32:33], vcc, v[2:3], v[50:51], v[2:3]
	v_mul_f64 v[34:35], v[32:33], v[30:31]
	v_fma_f64 v[16:17], -v[16:17], v[34:35], v[32:33]
	s_nop 1
	v_div_fmas_f64 v[16:17], v[16:17], v[30:31], v[34:35]
	v_div_fixup_f64 v[2:3], v[16:17], v[50:51], v[2:3]
	v_add_f64 v[2:3], v[2:3], s[24:25]
	v_div_scale_f64 v[16:17], s[24:25], v[50:51], v[50:51], v[2:3]
	s_mov_b32 s24, 0x60bc7608
	s_mov_b32 s25, 0x416e98fa
	v_rcp_f64_e32 v[30:31], v[16:17]
	v_fma_f64 v[32:33], -v[16:17], v[30:31], 1.0
	v_fma_f64 v[30:31], v[30:31], v[32:33], v[30:31]
	v_fma_f64 v[32:33], -v[16:17], v[30:31], 1.0
	v_fma_f64 v[30:31], v[30:31], v[32:33], v[30:31]
	v_div_scale_f64 v[32:33], vcc, v[2:3], v[50:51], v[2:3]
	v_mul_f64 v[34:35], v[32:33], v[30:31]
	v_fma_f64 v[16:17], -v[16:17], v[34:35], v[32:33]
	s_nop 1
	v_div_fmas_f64 v[16:17], v[16:17], v[30:31], v[34:35]
	v_div_fixup_f64 v[2:3], v[16:17], v[50:51], v[2:3]
	v_fma_f64 v[2:3], v[50:51], v[52:53], v[2:3]
	v_add_f64 v[2:3], v[2:3], s[24:25]
	s_mov_b32 s25, 0xc00f6a6b
	s_mov_b32 s24, 0xd7175b27
	v_add_f64 v[16:17], v[50:51], s[24:25]
	s_mov_b32 s25, 0x400f6a6b
	v_div_scale_f64 v[30:31], s[26:27], v[16:17], v[16:17], s[24:25]
	v_rcp_f64_e32 v[32:33], v[30:31]
	v_fma_f64 v[34:35], -v[30:31], v[32:33], 1.0
	v_fma_f64 v[32:33], v[32:33], v[34:35], v[32:33]
	v_fma_f64 v[34:35], -v[30:31], v[32:33], 1.0
	v_fma_f64 v[32:33], v[32:33], v[34:35], v[32:33]
	v_div_scale_f64 v[34:35], vcc, s[24:25], v[16:17], s[24:25]
	v_mul_f64 v[36:37], v[34:35], v[32:33]
	v_fma_f64 v[30:31], -v[30:31], v[36:37], v[34:35]
	s_nop 1
	v_div_fmas_f64 v[30:31], v[30:31], v[32:33], v[36:37]
	v_div_fixup_f64 v[16:17], v[30:31], v[16:17], s[24:25]
	s_mov_b32 s24, 0x5bfb2721
	s_mov_b32 s25, 0xbf43aef7
	v_fma_f64 v[58:59], v[2:3], v[0:1], v[16:17]
	v_mov_b32_e32 v2, 0x3d287e7
	v_mov_b32_e32 v3, 0xbfd753a2
	v_fma_f64 v[2:3], v[50:51], s[24:25], v[2:3]
	s_mov_b32 s24, 0x4c53000c
	s_mov_b32 s25, 0x402f7fcd
	v_fma_f64 v[2:3], v[50:51], v[2:3], s[24:25]
	s_mov_b32 s24, 0xd247dd83
	s_mov_b32 s25, 0xc084778d
	;; [unrolled: 3-line block ×5, first 2 shown]
	v_div_scale_f64 v[2:3], s[26:27], v[50:51], v[50:51], s[24:25]
	v_rcp_f64_e32 v[16:17], v[2:3]
	v_fma_f64 v[30:31], -v[2:3], v[16:17], 1.0
	v_fma_f64 v[16:17], v[16:17], v[30:31], v[16:17]
	v_fma_f64 v[30:31], -v[2:3], v[16:17], 1.0
	v_fma_f64 v[16:17], v[16:17], v[30:31], v[16:17]
	v_div_scale_f64 v[30:31], vcc, s[24:25], v[50:51], s[24:25]
	v_mul_f64 v[32:33], v[30:31], v[16:17]
	v_fma_f64 v[2:3], -v[2:3], v[32:33], v[30:31]
	s_nop 1
	v_div_fmas_f64 v[2:3], v[2:3], v[16:17], v[32:33]
	v_div_fixup_f64 v[2:3], v[2:3], v[50:51], s[24:25]
	s_mov_b32 s24, 0x88468124
	s_mov_b32 s25, 0xc16f75ee
	v_add_f64 v[2:3], v[2:3], s[24:25]
	v_div_scale_f64 v[16:17], s[24:25], v[50:51], v[50:51], v[2:3]
	s_mov_b32 s24, 0xb3692b7d
	s_mov_b32 s25, 0x4146a539
	v_rcp_f64_e32 v[30:31], v[16:17]
	v_fma_f64 v[32:33], -v[16:17], v[30:31], 1.0
	v_fma_f64 v[30:31], v[30:31], v[32:33], v[30:31]
	v_fma_f64 v[32:33], -v[16:17], v[30:31], 1.0
	v_fma_f64 v[30:31], v[30:31], v[32:33], v[30:31]
	v_div_scale_f64 v[32:33], vcc, v[2:3], v[50:51], v[2:3]
	v_mul_f64 v[34:35], v[32:33], v[30:31]
	v_fma_f64 v[16:17], -v[16:17], v[34:35], v[32:33]
	s_nop 1
	v_div_fmas_f64 v[16:17], v[16:17], v[30:31], v[34:35]
	v_div_fixup_f64 v[2:3], v[16:17], v[50:51], v[2:3]
	v_fma_f64 v[2:3], v[50:51], v[52:53], v[2:3]
	v_add_f64 v[2:3], v[2:3], s[24:25]
	s_mov_b32 s25, 0xc0212d61
	s_mov_b32 s24, 0xa833213e
	v_add_f64 v[16:17], v[50:51], s[24:25]
	s_mov_b32 s25, 0x40212d61
	v_div_scale_f64 v[30:31], s[26:27], v[16:17], v[16:17], s[24:25]
	v_rcp_f64_e32 v[32:33], v[30:31]
	v_fma_f64 v[34:35], -v[30:31], v[32:33], 1.0
	v_fma_f64 v[32:33], v[32:33], v[34:35], v[32:33]
	v_fma_f64 v[34:35], -v[30:31], v[32:33], 1.0
	v_fma_f64 v[32:33], v[32:33], v[34:35], v[32:33]
	v_div_scale_f64 v[34:35], vcc, s[24:25], v[16:17], s[24:25]
	v_mul_f64 v[36:37], v[34:35], v[32:33]
	v_fma_f64 v[30:31], -v[30:31], v[36:37], v[34:35]
	s_nop 1
	v_div_fmas_f64 v[30:31], v[30:31], v[32:33], v[36:37]
	v_mov_b32_e32 v36, v48
	v_mov_b32_e32 v37, v49
	;; [unrolled: 1-line block ×4, first 2 shown]
	v_div_fixup_f64 v[16:17], v[30:31], v[16:17], s[24:25]
	s_mov_b32 s24, 0x999f3b2
	s_mov_b32 s25, 0x3f2d856f
	v_fma_f64 v[52:53], v[2:3], v[0:1], v[16:17]
	v_mul_f64 v[2:3], v[0:1], v[41:42]
	v_fma_f64 v[46:47], v[48:49], s[24:25], v[2:3]
	s_mov_b32 s24, 0x29fd24f1
	v_mov_b32_e32 v2, 0x73858adf
	v_mov_b32_e32 v3, 0xbf82c698
	s_mov_b32 s25, 0x3f2efc07
	v_fma_f64 v[2:3], v[50:51], s[24:25], v[2:3]
	s_mov_b32 s24, 0xca6d13a7
	s_mov_b32 s25, 0x3fdd9476
	v_fma_f64 v[2:3], v[50:51], v[2:3], s[24:25]
	s_mov_b32 s24, 0xcbc4d9e7
	;; [unrolled: 3-line block ×5, first 2 shown]
	s_mov_b32 s25, 0x4188dd4b
	v_div_scale_f64 v[2:3], s[26:27], v[50:51], v[50:51], s[24:25]
	v_rcp_f64_e32 v[16:17], v[2:3]
	v_fma_f64 v[30:31], -v[2:3], v[16:17], 1.0
	v_fma_f64 v[16:17], v[16:17], v[30:31], v[16:17]
	v_fma_f64 v[30:31], -v[2:3], v[16:17], 1.0
	v_fma_f64 v[16:17], v[16:17], v[30:31], v[16:17]
	v_div_scale_f64 v[30:31], vcc, s[24:25], v[50:51], s[24:25]
	v_mul_f64 v[32:33], v[30:31], v[16:17]
	v_fma_f64 v[2:3], -v[2:3], v[32:33], v[30:31]
	s_nop 1
	v_div_fmas_f64 v[2:3], v[2:3], v[16:17], v[32:33]
	v_div_fixup_f64 v[2:3], v[2:3], v[50:51], s[24:25]
	s_mov_b32 s24, 0x4e0bb8d1
	s_mov_b32 s25, 0xc1699482
	v_add_f64 v[2:3], v[2:3], s[24:25]
	v_div_scale_f64 v[16:17], s[24:25], v[50:51], v[50:51], v[2:3]
	s_mov_b32 s24, 0xfba9940e
	s_mov_b32 s25, 0x4131585c
	v_rcp_f64_e32 v[30:31], v[16:17]
	v_fma_f64 v[32:33], -v[16:17], v[30:31], 1.0
	v_fma_f64 v[30:31], v[30:31], v[32:33], v[30:31]
	v_fma_f64 v[32:33], -v[16:17], v[30:31], 1.0
	v_fma_f64 v[30:31], v[30:31], v[32:33], v[30:31]
	v_div_scale_f64 v[32:33], vcc, v[2:3], v[50:51], v[2:3]
	v_mul_f64 v[34:35], v[32:33], v[30:31]
	v_fma_f64 v[16:17], -v[16:17], v[34:35], v[32:33]
	s_nop 1
	v_div_fmas_f64 v[16:17], v[16:17], v[30:31], v[34:35]
	v_div_fixup_f64 v[2:3], v[16:17], v[50:51], v[2:3]
	v_add_f64 v[2:3], v[2:3], s[24:25]
	v_div_scale_f64 v[16:17], s[24:25], v[50:51], v[50:51], v[2:3]
	s_mov_b32 s24, 0xd53b761
	s_mov_b32 s25, 0xc0a5fe06
	v_rcp_f64_e32 v[30:31], v[16:17]
	v_fma_f64 v[32:33], -v[16:17], v[30:31], 1.0
	v_fma_f64 v[30:31], v[30:31], v[32:33], v[30:31]
	v_fma_f64 v[32:33], -v[16:17], v[30:31], 1.0
	v_fma_f64 v[30:31], v[30:31], v[32:33], v[30:31]
	v_div_scale_f64 v[32:33], vcc, v[2:3], v[50:51], v[2:3]
	v_mul_f64 v[34:35], v[32:33], v[30:31]
	v_fma_f64 v[16:17], -v[16:17], v[34:35], v[32:33]
	s_nop 1
	v_div_fmas_f64 v[16:17], v[16:17], v[30:31], v[34:35]
	v_div_fixup_f64 v[2:3], v[16:17], v[50:51], v[2:3]
	v_fma_f64 v[2:3], v[50:51], v[41:42], v[2:3]
	v_add_f64 v[2:3], v[2:3], s[24:25]
	s_mov_b32 s24, 0x5a77e739
	s_mov_b32 s25, 0x3f93bba1
	v_mul_f64 v[2:3], v[2:3], v[0:1]
	v_fma_f64 v[44:45], v[48:49], s[24:25], v[2:3]
	s_mov_b32 s24, 0x6fb3601f
	v_mov_b32_e32 v2, 0xdb9a5984
	v_mov_b32_e32 v3, 0xbfa21ea1
	s_mov_b32 s25, 0x3f47ea5b
	v_fma_f64 v[2:3], v[50:51], s[24:25], v[2:3]
	s_mov_b32 s24, 0xf7a451f9
	s_mov_b32 s25, 0x40009fb0
	v_fma_f64 v[2:3], v[50:51], v[2:3], s[24:25]
	s_mov_b32 s24, 0xce1d8ef7
	;; [unrolled: 3-line block ×5, first 2 shown]
	s_mov_b32 s25, 0x416d82bf
	v_div_scale_f64 v[2:3], s[26:27], v[50:51], v[50:51], s[24:25]
	v_rcp_f64_e32 v[16:17], v[2:3]
	v_fma_f64 v[30:31], -v[2:3], v[16:17], 1.0
	v_fma_f64 v[16:17], v[16:17], v[30:31], v[16:17]
	v_fma_f64 v[30:31], -v[2:3], v[16:17], 1.0
	v_fma_f64 v[16:17], v[16:17], v[30:31], v[16:17]
	v_div_scale_f64 v[30:31], vcc, s[24:25], v[50:51], s[24:25]
	v_mul_f64 v[32:33], v[30:31], v[16:17]
	v_fma_f64 v[2:3], -v[2:3], v[32:33], v[30:31]
	s_nop 1
	v_div_fmas_f64 v[2:3], v[2:3], v[16:17], v[32:33]
	v_div_fixup_f64 v[2:3], v[2:3], v[50:51], s[24:25]
	s_mov_b32 s24, 0xfa71469f
	s_mov_b32 s25, 0xc1541171
	v_add_f64 v[2:3], v[2:3], s[24:25]
	v_div_scale_f64 v[16:17], s[24:25], v[50:51], v[50:51], v[2:3]
	s_mov_b32 s24, 0xcd4be3bf
	s_mov_b32 s25, 0x4127693e
	v_rcp_f64_e32 v[30:31], v[16:17]
	v_fma_f64 v[32:33], -v[16:17], v[30:31], 1.0
	v_fma_f64 v[30:31], v[30:31], v[32:33], v[30:31]
	v_fma_f64 v[32:33], -v[16:17], v[30:31], 1.0
	v_fma_f64 v[30:31], v[30:31], v[32:33], v[30:31]
	v_div_scale_f64 v[32:33], vcc, v[2:3], v[50:51], v[2:3]
	v_mul_f64 v[34:35], v[32:33], v[30:31]
	v_fma_f64 v[16:17], -v[16:17], v[34:35], v[32:33]
	s_nop 1
	v_div_fmas_f64 v[16:17], v[16:17], v[30:31], v[34:35]
	v_mov_b32_e32 v34, v48
	v_mov_b32_e32 v35, v49
	v_div_fixup_f64 v[2:3], v[16:17], v[50:51], v[2:3]
	v_fma_f64 v[2:3], v[50:51], v[41:42], v[2:3]
	v_add_f64 v[2:3], v[2:3], s[24:25]
	s_mov_b32 s24, 0x41317cef
	s_mov_b32 s25, 0x3fce036f
	v_mul_f64 v[2:3], v[2:3], v[0:1]
	v_fma_f64 v[41:42], v[48:49], s[24:25], v[2:3]
	s_mov_b32 s24, 0xb4d0174d
	s_mov_b32 s25, 0x3fc91e26
	v_div_scale_f64 v[2:3], s[26:27], v[50:51], v[50:51], s[24:25]
	v_rcp_f64_e32 v[16:17], v[2:3]
	v_fma_f64 v[30:31], -v[2:3], v[16:17], 1.0
	v_fma_f64 v[16:17], v[16:17], v[30:31], v[16:17]
	v_fma_f64 v[30:31], -v[2:3], v[16:17], 1.0
	v_fma_f64 v[16:17], v[16:17], v[30:31], v[16:17]
	v_div_scale_f64 v[30:31], vcc, s[24:25], v[50:51], s[24:25]
	v_mul_f64 v[32:33], v[30:31], v[16:17]
	v_fma_f64 v[2:3], -v[2:3], v[32:33], v[30:31]
	s_nop 1
	v_div_fmas_f64 v[2:3], v[2:3], v[16:17], v[32:33]
	v_div_fixup_f64 v[2:3], v[2:3], v[50:51], s[24:25]
	s_mov_b32 s24, 0x80245b5f
	s_mov_b32 s25, 0xbfdfce11
	v_add_f64 v[56:57], v[2:3], s[24:25]
	v_div_scale_f64 v[54:55], s[24:25], v[50:51], v[50:51], v[56:57]
	s_mov_b32 s24, 0x6403a8cf
	s_mov_b32 s25, 0xbf0f8a14
	v_rcp_f64_e32 v[2:3], v[54:55]
	v_fma_f64 v[16:17], -v[54:55], v[2:3], 1.0
	v_fma_f64 v[2:3], v[2:3], v[16:17], v[2:3]
	v_fma_f64 v[16:17], -v[54:55], v[2:3], 1.0
	v_fma_f64 v[48:49], v[2:3], v[16:17], v[2:3]
	v_div_scale_f64 v[2:3], vcc, v[56:57], v[50:51], v[56:57]
	v_mul_f64 v[16:17], v[2:3], v[48:49]
	v_fma_f64 v[2:3], -v[54:55], v[16:17], v[2:3]
	s_nop 1
	v_div_fmas_f64 v[2:3], v[2:3], v[48:49], v[16:17]
	v_div_fixup_f64 v[2:3], v[2:3], v[50:51], v[56:57]
                                        ; implicit-def: $vgpr50_vgpr51
	v_add_f64 v[2:3], v[2:3], s[24:25]
	v_fma_f64 v[2:3], v[2:3], v[0:1], v[34:35]
	v_add_f64 v[2:3], v[2:3], -v[41:42]
	v_add_f64 v[2:3], v[2:3], -v[44:45]
	v_add_f64 v[56:57], v[2:3], -v[46:47]
.LBB0_67:
	s_andn2_saveexec_b64 s[24:25], s[4:5]
	s_cbranch_execz .LBB0_73
; %bb.68:
	s_mov_b32 s4, 0x54442d15
	s_mov_b32 s5, 0x3fe921fb
	v_div_scale_f64 v[2:3], s[26:27], v[50:51], v[50:51], s[4:5]
	v_mov_b32_e32 v11, 0x100
                                        ; implicit-def: $vgpr46_vgpr47
                                        ; implicit-def: $vgpr44_vgpr45
                                        ; implicit-def: $vgpr41_vgpr42
                                        ; implicit-def: $vgpr56_vgpr57
                                        ; implicit-def: $vgpr52_vgpr53
                                        ; implicit-def: $vgpr58_vgpr59
                                        ; implicit-def: $vgpr36_vgpr37
                                        ; implicit-def: $vgpr38_vgpr39
	v_rcp_f64_e32 v[16:17], v[2:3]
	v_fma_f64 v[30:31], -v[2:3], v[16:17], 1.0
	v_fma_f64 v[16:17], v[16:17], v[30:31], v[16:17]
	v_div_scale_f64 v[30:31], vcc, s[4:5], v[50:51], s[4:5]
	v_fma_f64 v[32:33], -v[2:3], v[16:17], 1.0
	v_fma_f64 v[16:17], v[16:17], v[32:33], v[16:17]
	v_mul_f64 v[32:33], v[30:31], v[16:17]
	v_fma_f64 v[2:3], -v[2:3], v[32:33], v[30:31]
	v_div_fmas_f64 v[2:3], v[2:3], v[16:17], v[32:33]
	v_div_fixup_f64 v[2:3], v[2:3], v[50:51], s[4:5]
	s_mov_b32 s4, 0
	s_brev_b32 s5, 8
	v_cmp_gt_f64_e32 vcc, s[4:5], v[2:3]
	s_mov_b32 s4, 0
	s_mov_b32 s5, 0x404a8000
	v_cmp_ge_f64_e64 s[4:5], s[4:5], v[50:51]
	v_cndmask_b32_e32 v11, 0, v11, vcc
	v_ldexp_f64 v[2:3], v[2:3], v11
	v_mov_b32_e32 v11, 0xffffff80
	v_cndmask_b32_e32 v11, 0, v11, vcc
	v_rsq_f64_e32 v[16:17], v[2:3]
	v_mul_f64 v[30:31], v[2:3], v[16:17]
	v_mul_f64 v[16:17], v[16:17], 0.5
	v_fma_f64 v[32:33], -v[16:17], v[30:31], 0.5
	v_fma_f64 v[30:31], v[30:31], v[32:33], v[30:31]
	v_fma_f64 v[16:17], v[16:17], v[32:33], v[16:17]
	v_fma_f64 v[32:33], -v[30:31], v[30:31], v[2:3]
	v_fma_f64 v[30:31], v[32:33], v[16:17], v[30:31]
	v_fma_f64 v[32:33], -v[30:31], v[30:31], v[2:3]
	v_fma_f64 v[16:17], v[32:33], v[16:17], v[30:31]
	v_mov_b32_e32 v30, 0x260
	v_cmp_class_f64_e32 vcc, v[2:3], v30
	v_ldexp_f64 v[16:17], v[16:17], v11
	v_cndmask_b32_e32 v1, v17, v3, vcc
	v_cndmask_b32_e32 v0, v16, v2, vcc
	s_and_saveexec_b64 s[26:27], s[4:5]
	s_xor_b64 s[26:27], exec, s[26:27]
	s_cbranch_execz .LBB0_70
; %bb.69:
	s_mov_b32 s44, 0xfca7ab0c
	s_mov_b32 s45, 0x3e928af3
	v_mov_b32_e32 v30, s44
	v_mov_b32_e32 v31, s45
	buffer_store_dword v30, off, s[0:3], s33 offset:716 ; 4-byte Folded Spill
	s_nop 0
	buffer_store_dword v31, off, s[0:3], s33 offset:720 ; 4-byte Folded Spill
	s_mov_b32 s5, 0xbff71547
	s_mov_b32 s4, 0x652b82fe
	v_mul_f64 v[2:3], v[50:51], s[4:5]
	s_mov_b32 s28, 0xfefa39ef
	s_mov_b32 s29, 0xbfe62e42
	;; [unrolled: 1-line block ×7, first 2 shown]
	v_rndne_f64_e32 v[2:3], v[2:3]
	s_mov_b32 s45, 0x3ec71dee
	s_mov_b32 s46, 0x7c89e6b0
	s_mov_b32 s47, 0x3efa0199
	s_mov_b32 s56, 0x14761f6e
	s_mov_b32 s57, 0x3f2a01a0
	s_mov_b32 s58, 0x1852b7b0
	s_mov_b32 s59, 0x3f56c16c
	v_fma_f64 v[16:17], v[2:3], s[28:29], -v[50:51]
	s_mov_b32 s60, 0x11122322
	s_mov_b32 s61, 0x3f811111
	;; [unrolled: 1-line block ×7, first 2 shown]
	v_fma_f64 v[16:17], v[2:3], s[40:41], v[16:17]
	s_mov_b32 s75, 0x3fe00000
	v_cvt_i32_f64_e32 v2, v[2:3]
	v_cmp_eq_f64_e32 vcc, 1.0, v[50:51]
	s_mov_b32 s77, 0x3fe55555
	s_mov_b32 s76, 0x55555555
	;; [unrolled: 1-line block ×4, first 2 shown]
	v_frexp_exp_i32_f64_e32 v11, v[50:51]
	v_mov_b32_e32 v48, 0
	s_mov_b32 s5, 0x3ff71547
	v_fma_f64 v[30:31], v[16:17], s[42:43], v[30:31]
	v_fma_f64 v[30:31], v[16:17], v[30:31], s[44:45]
	;; [unrolled: 1-line block ×9, first 2 shown]
	v_fma_f64 v[30:31], v[16:17], v[30:31], 1.0
	v_fma_f64 v[16:17], v[16:17], v[30:31], 1.0
	v_ldexp_f64 v[2:3], v[16:17], v2
	buffer_store_dword v2, off, s[0:3], s33 offset:708 ; 4-byte Folded Spill
	s_nop 0
	buffer_store_dword v3, off, s[0:3], s33 offset:712 ; 4-byte Folded Spill
	v_mov_b32_e32 v2, 0x40100000
	v_mov_b32_e32 v3, 0x3ff00000
	v_cndmask_b32_e32 v49, v2, v3, vcc
	v_frexp_mant_f64_e32 v[2:3], v[50:51]
	v_cmp_gt_f64_e32 vcc, s[76:77], v[2:3]
	v_cndmask_b32_e64 v16, 0, 1, vcc
	v_ldexp_f64 v[2:3], v[2:3], v16
	v_subbrev_co_u32_e32 v11, vcc, 0, v11, vcc
	v_add_f64 v[30:31], v[2:3], 1.0
	v_add_f64 v[16:17], v[2:3], -1.0
	v_add_f64 v[32:33], v[30:31], -1.0
	v_add_f64 v[2:3], v[2:3], -v[32:33]
	v_rcp_f64_e32 v[32:33], v[30:31]
	v_fma_f64 v[34:35], -v[30:31], v[32:33], 1.0
	v_fma_f64 v[32:33], v[34:35], v[32:33], v[32:33]
	v_fma_f64 v[34:35], -v[30:31], v[32:33], 1.0
	v_fma_f64 v[32:33], v[34:35], v[32:33], v[32:33]
	v_mul_f64 v[34:35], v[16:17], v[32:33]
	v_mul_f64 v[36:37], v[30:31], v[34:35]
	v_fma_f64 v[30:31], v[34:35], v[30:31], -v[36:37]
	v_fma_f64 v[2:3], v[34:35], v[2:3], v[30:31]
	v_add_f64 v[30:31], v[36:37], v[2:3]
	v_add_f64 v[38:39], v[16:17], -v[30:31]
	v_add_f64 v[36:37], v[30:31], -v[36:37]
	v_add_f64 v[16:17], v[16:17], -v[38:39]
	v_add_f64 v[2:3], v[36:37], -v[2:3]
	v_add_f64 v[16:17], v[16:17], -v[30:31]
	v_add_f64 v[2:3], v[2:3], v[16:17]
	v_add_f64 v[2:3], v[38:39], v[2:3]
	v_mul_f64 v[2:3], v[32:33], v[2:3]
	v_add_f64 v[16:17], v[34:35], v[2:3]
	v_add_f64 v[30:31], v[16:17], -v[34:35]
	v_ldexp_f64 v[58:59], v[16:17], 1
	v_add_f64 v[2:3], v[2:3], -v[30:31]
	v_mul_f64 v[30:31], v[16:17], v[16:17]
	v_add_f64 v[34:35], v[2:3], v[2:3]
	v_fma_f64 v[32:33], v[16:17], v[16:17], -v[30:31]
	v_fma_f64 v[32:33], v[16:17], v[34:35], v[32:33]
	v_add_f64 v[52:53], v[30:31], v[32:33]
	v_add_f64 v[30:31], v[52:53], -v[30:31]
	v_add_f64 v[41:42], v[32:33], -v[30:31]
	v_mov_b32_e32 v30, 0x968915a9
	v_mov_b32_e32 v31, 0x3fba6564
	v_fma_f64 v[30:31], v[52:53], s[78:79], v[30:31]
	s_mov_b32 s78, 0x3abe935a
	s_mov_b32 s79, 0x3fbe25e4
	v_cvt_f64_i32_e32 v[32:33], v11
	v_fma_f64 v[30:31], v[52:53], v[30:31], s[78:79]
	s_mov_b32 s78, 0x47e6c9c2
	s_mov_b32 s79, 0x3fc110ef
	v_fma_f64 v[30:31], v[52:53], v[30:31], s[78:79]
	s_mov_b32 s78, 0xcfa74449
	s_mov_b32 s79, 0x3fc3b13b
	;; [unrolled: 3-line block ×7, first 2 shown]
	v_mul_f64 v[34:35], v[32:33], s[78:79]
	v_fma_f64 v[36:37], v[32:33], s[78:79], -v[34:35]
	s_mov_b32 s79, 0x3c7abc9e
	s_mov_b32 s78, s40
	v_fma_f64 v[32:33], v[32:33], s[78:79], v[36:37]
	v_ldexp_f64 v[36:37], v[2:3], 1
	s_movk_i32 s78, 0x204
	v_add_f64 v[46:47], v[34:35], v[32:33]
	v_add_f64 v[34:35], v[46:47], -v[34:35]
	v_add_f64 v[44:45], v[32:33], -v[34:35]
	v_mul_f64 v[32:33], v[16:17], v[52:53]
	v_fma_f64 v[34:35], v[52:53], v[16:17], -v[32:33]
	v_fma_f64 v[2:3], v[52:53], v[2:3], v[34:35]
	v_fma_f64 v[2:3], v[41:42], v[16:17], v[2:3]
	v_add_f64 v[54:55], v[32:33], v[2:3]
	v_add_f64 v[16:17], v[54:55], -v[32:33]
	v_add_f64 v[56:57], v[2:3], -v[16:17]
	v_mul_f64 v[2:3], v[52:53], v[30:31]
	v_fma_f64 v[16:17], v[52:53], v[30:31], -v[2:3]
	v_fma_f64 v[16:17], v[41:42], v[30:31], v[16:17]
	v_add_f64 v[30:31], v[2:3], v[16:17]
	v_add_f64 v[2:3], v[30:31], -v[2:3]
	v_add_f64 v[2:3], v[16:17], -v[2:3]
	v_add_f64 v[16:17], v[30:31], s[76:77]
	s_mov_b32 s77, 0xbfe55555
	v_add_f64 v[32:33], v[16:17], s[76:77]
	s_mov_b32 s76, 0xd5df274d
	s_mov_b32 s77, 0x3c8543b0
	v_add_f64 v[2:3], v[2:3], s[76:77]
	s_mov_b32 s76, 0
	s_mov_b32 s77, 0x7ff00000
	v_add_f64 v[30:31], v[30:31], -v[32:33]
	v_add_f64 v[2:3], v[2:3], v[30:31]
	v_add_f64 v[30:31], v[16:17], v[2:3]
	v_add_f64 v[16:17], v[16:17], -v[30:31]
	v_add_f64 v[2:3], v[2:3], v[16:17]
	v_mul_f64 v[16:17], v[54:55], v[30:31]
	v_fma_f64 v[32:33], v[54:55], v[30:31], -v[16:17]
	v_fma_f64 v[2:3], v[54:55], v[2:3], v[32:33]
	v_fma_f64 v[2:3], v[56:57], v[30:31], v[2:3]
	v_add_f64 v[30:31], v[16:17], v[2:3]
	v_add_f64 v[16:17], v[30:31], -v[16:17]
	v_add_f64 v[2:3], v[2:3], -v[16:17]
	v_add_f64 v[16:17], v[58:59], v[30:31]
	v_add_f64 v[2:3], v[36:37], v[2:3]
	v_add_f64 v[32:33], v[16:17], -v[58:59]
	v_add_f64 v[30:31], v[30:31], -v[32:33]
	v_add_f64 v[2:3], v[2:3], v[30:31]
	;; [unrolled: 4-line block ×3, first 2 shown]
	v_add_f64 v[32:33], v[16:17], -v[46:47]
	v_add_f64 v[34:35], v[16:17], -v[32:33]
	;; [unrolled: 1-line block ×3, first 2 shown]
	v_add_f64 v[32:33], v[44:45], v[2:3]
	v_add_f64 v[34:35], v[46:47], -v[34:35]
	v_add_f64 v[30:31], v[30:31], v[34:35]
	v_add_f64 v[34:35], v[32:33], -v[44:45]
	;; [unrolled: 2-line block ×3, first 2 shown]
	v_add_f64 v[2:3], v[2:3], -v[34:35]
	buffer_load_dword v34, off, s[0:3], s33 offset:716 ; 4-byte Folded Reload
	buffer_load_dword v35, off, s[0:3], s33 offset:720 ; 4-byte Folded Reload
	v_add_f64 v[32:33], v[16:17], v[30:31]
	v_add_f64 v[36:37], v[44:45], -v[36:37]
	v_add_f64 v[16:17], v[32:33], -v[16:17]
	v_add_f64 v[2:3], v[2:3], v[36:37]
	v_add_f64 v[16:17], v[30:31], -v[16:17]
	v_add_f64 v[2:3], v[2:3], v[16:17]
	v_add_f64 v[16:17], v[32:33], v[2:3]
	v_add_f64 v[30:31], v[16:17], -v[32:33]
	v_add_f64 v[2:3], v[2:3], -v[30:31]
	v_mul_f64 v[30:31], v[48:49], v[16:17]
	v_fma_f64 v[16:17], v[48:49], v[16:17], -v[30:31]
	v_cmp_class_f64_e64 vcc, v[30:31], s78
	v_fma_f64 v[2:3], v[48:49], v[2:3], v[16:17]
	v_add_f64 v[16:17], v[30:31], v[2:3]
	v_add_f64 v[32:33], v[16:17], -v[30:31]
	v_cndmask_b32_e32 v17, v17, v31, vcc
	v_cndmask_b32_e32 v16, v16, v30, vcc
	v_mul_f64 v[30:31], v[16:17], s[4:5]
	v_cmp_neq_f64_e64 vcc, |v[16:17]|, s[76:77]
	s_mov_b32 s4, 0
	s_mov_b32 s5, 0x40900000
	v_add_f64 v[2:3], v[2:3], -v[32:33]
	v_rndne_f64_e32 v[30:31], v[30:31]
	v_cndmask_b32_e32 v3, 0, v3, vcc
	v_cndmask_b32_e32 v2, 0, v2, vcc
	v_cmp_nlt_f64_e32 vcc, s[4:5], v[16:17]
	v_fma_f64 v[32:33], v[30:31], s[28:29], v[16:17]
	v_cvt_i32_f64_e32 v11, v[30:31]
	s_mov_b32 s4, 0
	s_mov_b32 s5, 0xc090cc00
	v_cmp_ngt_f64_e64 s[4:5], s[4:5], v[16:17]
	v_fma_f64 v[32:33], v[30:31], s[40:41], v[32:33]
	s_waitcnt vmcnt(0)
	v_fma_f64 v[34:35], v[32:33], s[42:43], v[34:35]
	v_fma_f64 v[34:35], v[32:33], v[34:35], s[44:45]
	;; [unrolled: 1-line block ×3, first 2 shown]
	v_readlane_b32 s46, v61, 0
	v_readlane_b32 s47, v61, 1
	v_fma_f64 v[34:35], v[32:33], v[34:35], s[56:57]
	v_fma_f64 v[34:35], v[32:33], v[34:35], s[58:59]
	;; [unrolled: 1-line block ×6, first 2 shown]
	v_fma_f64 v[34:35], v[32:33], v[34:35], 1.0
	v_fma_f64 v[32:33], v[32:33], v[34:35], 1.0
	v_ldexp_f64 v[30:31], v[32:33], v11
	v_mov_b32_e32 v11, 0x7ff00000
	v_cndmask_b32_e32 v11, v11, v31, vcc
	s_and_b64 vcc, s[4:5], vcc
	v_cndmask_b32_e32 v16, 0, v30, vcc
	v_cndmask_b32_e64 v17, 0, v11, s[4:5]
	v_fma_f64 v[2:3], v[16:17], v[2:3], v[16:17]
	v_cmp_class_f64_e64 vcc, v[16:17], s78
	s_mov_b32 s4, 0x73219d23
	s_mov_b32 s5, 0xbf61f398
	v_cndmask_b32_e32 v3, v3, v17, vcc
	v_cndmask_b32_e32 v2, v2, v16, vcc
	buffer_load_dword v16, off, s[0:3], s33 offset:708 ; 4-byte Folded Reload
	buffer_load_dword v17, off, s[0:3], s33 offset:712 ; 4-byte Folded Reload
	s_waitcnt vmcnt(0)
	v_mul_f64 v[41:42], v[16:17], |v[2:3]|
	v_mov_b32_e32 v2, 0xf4720604
	v_mov_b32_e32 v3, 0xbfbe7de0
	v_fma_f64 v[2:3], v[50:51], s[4:5], v[2:3]
	s_mov_b32 s4, 0xca767e40
	s_mov_b32 s5, 0xbfe801f4
	v_fma_f64 v[52:53], v[50:51], v[2:3], s[4:5]
	s_mov_b32 s5, 0xc0212d61
	s_mov_b32 s4, 0xa833213e
	v_add_f64 v[2:3], v[50:51], s[4:5]
	s_mov_b32 s5, 0x40212d61
	v_div_scale_f64 v[16:17], s[28:29], v[2:3], v[2:3], s[4:5]
	v_rcp_f64_e32 v[30:31], v[16:17]
	v_fma_f64 v[32:33], -v[16:17], v[30:31], 1.0
	v_fma_f64 v[30:31], v[30:31], v[32:33], v[30:31]
	v_fma_f64 v[32:33], -v[16:17], v[30:31], 1.0
	v_fma_f64 v[30:31], v[30:31], v[32:33], v[30:31]
	v_div_scale_f64 v[32:33], vcc, s[4:5], v[2:3], s[4:5]
	v_mul_f64 v[34:35], v[32:33], v[30:31]
	v_fma_f64 v[16:17], -v[16:17], v[34:35], v[32:33]
	s_nop 1
	v_div_fmas_f64 v[16:17], v[16:17], v[30:31], v[34:35]
	v_div_fixup_f64 v[2:3], v[16:17], v[2:3], s[4:5]
	s_mov_b32 s4, 0xca57d62
	s_mov_b32 s5, 0xbf4fa613
	v_fma_f64 v[52:53], v[52:53], v[41:42], v[2:3]
	v_mov_b32_e32 v2, 0x375fd124
	v_mov_b32_e32 v3, 0xbfa707e8
	v_fma_f64 v[2:3], v[50:51], s[4:5], v[2:3]
	s_mov_b32 s4, 0xa731c764
	s_mov_b32 s5, 0x3fe37b28
	v_fma_f64 v[2:3], v[50:51], v[2:3], s[4:5]
	s_mov_b32 s5, 0xc00f6a6b
	s_mov_b32 s4, 0xd7175b27
	v_add_f64 v[16:17], v[50:51], s[4:5]
	s_mov_b32 s5, 0x400f6a6b
	v_div_scale_f64 v[30:31], s[28:29], v[16:17], v[16:17], s[4:5]
	v_rcp_f64_e32 v[32:33], v[30:31]
	v_fma_f64 v[34:35], -v[30:31], v[32:33], 1.0
	v_fma_f64 v[32:33], v[32:33], v[34:35], v[32:33]
	v_fma_f64 v[34:35], -v[30:31], v[32:33], 1.0
	v_fma_f64 v[32:33], v[32:33], v[34:35], v[32:33]
	v_div_scale_f64 v[34:35], vcc, s[4:5], v[16:17], s[4:5]
	v_mul_f64 v[36:37], v[34:35], v[32:33]
	v_fma_f64 v[30:31], -v[30:31], v[36:37], v[34:35]
	s_nop 1
	v_div_fmas_f64 v[30:31], v[30:31], v[32:33], v[36:37]
	v_div_fixup_f64 v[16:17], v[30:31], v[16:17], s[4:5]
	s_mov_b32 s4, 0x65435abc
	s_mov_b32 s5, 0xbf37c2e9
	v_fma_f64 v[58:59], v[2:3], v[41:42], v[16:17]
	;; [unrolled: 25-line block ×4, first 2 shown]
	v_mov_b32_e32 v2, 0x6e03bb1d
	v_mov_b32_e32 v3, 0xbf14b025
	v_fma_f64 v[2:3], v[50:51], s[4:5], v[2:3]
	s_mov_b32 s4, 0xd6d83a5
	s_mov_b32 s5, 0x3f3583ed
	v_fma_f64 v[2:3], v[50:51], v[2:3], s[4:5]
	s_mov_b32 s4, 0x999f3b2
	s_mov_b32 s5, 0x3f2d856f
	v_mul_f64 v[2:3], v[2:3], v[41:42]
	v_fma_f64 v[46:47], v[0:1], s[4:5], v[2:3]
	s_mov_b32 s4, 0x2abb056e
	v_mov_b32_e32 v2, 0xc363f0e3
	v_mov_b32_e32 v3, 0xbf6eec89
	s_mov_b32 s5, 0x3f2b4d38
	v_fma_f64 v[2:3], v[50:51], s[4:5], v[2:3]
	s_mov_b32 s4, 0x813620f6
	s_mov_b32 s5, 0x3f957d47
	v_fma_f64 v[2:3], v[50:51], v[2:3], s[4:5]
	s_mov_b32 s4, 0x5a77e739
	s_mov_b32 s5, 0x3f93bba1
	v_mul_f64 v[2:3], v[2:3], v[41:42]
	v_fma_f64 v[44:45], v[0:1], s[4:5], v[2:3]
	s_mov_b32 s4, 0x326ec13e
	v_mov_b32_e32 v2, 0x3f893c63
	v_mov_b32_e32 v3, 0xbf89f358
	s_mov_b32 s5, 0x3f443286
	v_fma_f64 v[2:3], v[50:51], s[4:5], v[2:3]
	s_mov_b32 s4, 0x72d00ae0
	s_mov_b32 s5, 0x3fb4d9f0
	v_fma_f64 v[2:3], v[50:51], v[2:3], s[4:5]
	s_mov_b32 s4, 0x41317cef
	s_mov_b32 s5, 0x3fce036f
                                        ; implicit-def: $vgpr50_vgpr51
	v_mul_f64 v[2:3], v[2:3], v[41:42]
	v_fma_f64 v[41:42], v[0:1], s[4:5], v[2:3]
	v_add_f64 v[2:3], v[0:1], -v[41:42]
                                        ; implicit-def: $vgpr0_vgpr1
	v_add_f64 v[2:3], v[2:3], -v[44:45]
	v_add_f64 v[56:57], v[2:3], -v[46:47]
.LBB0_70:
	s_andn2_saveexec_b64 s[4:5], s[26:27]
	s_cbranch_execz .LBB0_72
; %bb.71:
	s_mov_b32 s27, 0xbfc2994e
	s_mov_b32 s26, 0x486cd916
	v_add_f64 v[2:3], v[50:51], s[26:27]
	s_mov_b32 s27, 0x3fc2994e
	s_mov_b32 s41, 0x3fce036f
	;; [unrolled: 1-line block ×3, first 2 shown]
	v_mul_f64 v[41:42], v[0:1], s[40:41]
	s_mov_b32 s41, 0xbfce036f
	v_div_scale_f64 v[16:17], s[28:29], v[2:3], v[2:3], s[26:27]
	v_rcp_f64_e32 v[30:31], v[16:17]
	v_fma_f64 v[32:33], -v[16:17], v[30:31], 1.0
	v_fma_f64 v[30:31], v[30:31], v[32:33], v[30:31]
	v_fma_f64 v[32:33], -v[16:17], v[30:31], 1.0
	v_fma_f64 v[30:31], v[30:31], v[32:33], v[30:31]
	v_div_scale_f64 v[32:33], vcc, s[26:27], v[2:3], s[26:27]
	v_mul_f64 v[34:35], v[32:33], v[30:31]
	v_fma_f64 v[16:17], -v[16:17], v[34:35], v[32:33]
	s_nop 1
	v_div_fmas_f64 v[16:17], v[16:17], v[30:31], v[34:35]
	v_div_fixup_f64 v[38:39], v[16:17], v[2:3], s[26:27]
	s_mov_b32 s27, 0xbff56cf1
	s_mov_b32 s26, 0x472aa3dd
	v_add_f64 v[2:3], v[50:51], s[26:27]
	s_mov_b32 s27, 0x3ff56cf1
	v_div_scale_f64 v[16:17], s[28:29], v[2:3], v[2:3], s[26:27]
	v_rcp_f64_e32 v[30:31], v[16:17]
	v_fma_f64 v[32:33], -v[16:17], v[30:31], 1.0
	v_fma_f64 v[30:31], v[30:31], v[32:33], v[30:31]
	v_fma_f64 v[32:33], -v[16:17], v[30:31], 1.0
	v_fma_f64 v[30:31], v[30:31], v[32:33], v[30:31]
	v_div_scale_f64 v[32:33], vcc, s[26:27], v[2:3], s[26:27]
	v_mul_f64 v[34:35], v[32:33], v[30:31]
	v_fma_f64 v[16:17], -v[16:17], v[34:35], v[32:33]
	s_nop 1
	v_div_fmas_f64 v[16:17], v[16:17], v[30:31], v[34:35]
	v_div_fixup_f64 v[36:37], v[16:17], v[2:3], s[26:27]
	s_mov_b32 s27, 0xc00f6a6b
	s_mov_b32 s26, 0xd7175b27
	v_add_f64 v[2:3], v[50:51], s[26:27]
	;; [unrolled: 16-line block ×3, first 2 shown]
	s_mov_b32 s27, 0x40212d61
	v_div_scale_f64 v[16:17], s[28:29], v[2:3], v[2:3], s[26:27]
	s_mov_b32 s29, 0x3f93bba1
	s_mov_b32 s28, 0x5a77e739
	v_mul_f64 v[44:45], v[0:1], s[28:29]
	s_mov_b32 s29, 0xbf93bba1
	v_rcp_f64_e32 v[30:31], v[16:17]
	v_fma_f64 v[32:33], -v[16:17], v[30:31], 1.0
	v_fma_f64 v[30:31], v[30:31], v[32:33], v[30:31]
	v_fma_f64 v[32:33], -v[16:17], v[30:31], 1.0
	v_fma_f64 v[30:31], v[30:31], v[32:33], v[30:31]
	v_div_scale_f64 v[32:33], vcc, s[26:27], v[2:3], s[26:27]
	v_mul_f64 v[34:35], v[32:33], v[30:31]
	v_fma_f64 v[16:17], -v[16:17], v[34:35], v[32:33]
	s_nop 1
	v_div_fmas_f64 v[16:17], v[16:17], v[30:31], v[34:35]
	v_div_fixup_f64 v[52:53], v[16:17], v[2:3], s[26:27]
	v_fma_f64 v[2:3], v[0:1], s[40:41], v[0:1]
	s_mov_b32 s27, 0x3f2d856f
	s_mov_b32 s26, 0x999f3b2
	v_mul_f64 v[46:47], v[0:1], s[26:27]
	s_mov_b32 s27, 0xbf2d856f
	v_fma_f64 v[2:3], v[0:1], s[28:29], v[2:3]
	v_fma_f64 v[56:57], v[0:1], s[26:27], v[2:3]
.LBB0_72:
	s_or_b64 exec, exec, s[4:5]
.LBB0_73:
	s_or_b64 exec, exec, s[24:25]
.LBB0_74:
	s_or_b64 exec, exec, s[22:23]
.LBB0_75:
	s_or_b64 exec, exec, s[20:21]
.LBB0_76:
	s_or_b64 exec, exec, s[18:19]
.LBB0_77:
	s_or_b64 exec, exec, s[16:17]
.LBB0_78:
	s_or_b64 exec, exec, s[14:15]
.LBB0_79:
	s_or_b64 exec, exec, s[12:13]
	buffer_store_dword v39, off, s[0:3], s33 offset:68
	buffer_store_dword v38, off, s[0:3], s33 offset:64
	;; [unrolled: 1-line block ×16, first 2 shown]
.LBB0_80:
	s_or_b64 exec, exec, s[10:11]
.LBB0_81:
	s_or_b64 exec, exec, s[8:9]
                                        ; implicit-def: $vgpr50_vgpr51
.LBB0_82:
	s_or_saveexec_b64 s[4:5], s[6:7]
	buffer_load_dword v47, off, s[0:3], s33 offset:832 ; 4-byte Folded Reload
	s_nop 0
	buffer_store_dword v40, off, s[0:3], s33 offset:716 ; 4-byte Folded Spill
	s_xor_b64 exec, exec, s[4:5]
	s_cbranch_execz .LBB0_221
; %bb.83:
	s_mov_b32 s6, 0xf40d8376
	s_mov_b32 s7, 0x3e9421f5
	v_cmp_ngt_f64_e32 vcc, s[6:7], v[50:51]
                                        ; implicit-def: $vgpr44_vgpr45
                                        ; implicit-def: $vgpr56_vgpr57
                                        ; implicit-def: $vgpr54_vgpr55
                                        ; implicit-def: $vgpr41_vgpr42
                                        ; implicit-def: $vgpr58_vgpr59
                                        ; implicit-def: $vgpr52_vgpr53
	s_and_saveexec_b64 s[6:7], vcc
	s_xor_b64 s[6:7], exec, s[6:7]
	s_cbranch_execz .LBB0_202
; %bb.84:
	v_cmp_ngt_f64_e32 vcc, 1.0, v[50:51]
                                        ; implicit-def: $vgpr44_vgpr45
                                        ; implicit-def: $vgpr56_vgpr57
                                        ; implicit-def: $vgpr54_vgpr55
                                        ; implicit-def: $vgpr41_vgpr42
                                        ; implicit-def: $vgpr58_vgpr59
                                        ; implicit-def: $vgpr52_vgpr53
	s_and_saveexec_b64 s[8:9], vcc
	s_xor_b64 s[8:9], exec, s[8:9]
	s_cbranch_execz .LBB0_188
; %bb.85:
	s_mov_b32 s10, 0
	s_mov_b32 s11, 0x40080000
	v_cmp_ngt_f64_e32 vcc, s[10:11], v[50:51]
                                        ; implicit-def: $vgpr44_vgpr45
                                        ; implicit-def: $vgpr56_vgpr57
                                        ; implicit-def: $vgpr54_vgpr55
                                        ; implicit-def: $vgpr41_vgpr42
                                        ; implicit-def: $vgpr58_vgpr59
                                        ; implicit-def: $vgpr52_vgpr53
	s_and_saveexec_b64 s[10:11], vcc
	s_xor_b64 s[10:11], exec, s[10:11]
	s_cbranch_execz .LBB0_174
; %bb.86:
	s_mov_b32 s12, 0
	s_mov_b32 s13, 0x40140000
	v_cmp_ngt_f64_e32 vcc, s[12:13], v[50:51]
	;; [unrolled: 13-line block ×5, first 2 shown]
                                        ; implicit-def: $vgpr44_vgpr45
                                        ; implicit-def: $vgpr56_vgpr57
                                        ; implicit-def: $vgpr54_vgpr55
                                        ; implicit-def: $vgpr41_vgpr42
                                        ; implicit-def: $vgpr58_vgpr59
                                        ; implicit-def: $vgpr52_vgpr53
	s_and_saveexec_b64 s[18:19], vcc
	s_xor_b64 s[18:19], exec, s[18:19]
	s_cbranch_execz .LBB0_111
; %bb.90:
	s_mov_b32 s20, 0x54442d15
	s_mov_b32 s21, 0x3fe921fb
	v_div_scale_f64 v[2:3], s[22:23], v[50:51], v[50:51], s[20:21]
	v_mov_b32_e32 v11, 0x100
                                        ; implicit-def: $vgpr44_vgpr45
                                        ; implicit-def: $vgpr56_vgpr57
                                        ; implicit-def: $vgpr41_vgpr42
                                        ; implicit-def: $vgpr58_vgpr59
                                        ; implicit-def: $vgpr52_vgpr53
	v_rcp_f64_e32 v[16:17], v[2:3]
	v_fma_f64 v[30:31], -v[2:3], v[16:17], 1.0
	v_fma_f64 v[16:17], v[16:17], v[30:31], v[16:17]
	v_div_scale_f64 v[30:31], vcc, s[20:21], v[50:51], s[20:21]
	v_fma_f64 v[32:33], -v[2:3], v[16:17], 1.0
	v_fma_f64 v[16:17], v[16:17], v[32:33], v[16:17]
	v_mul_f64 v[32:33], v[30:31], v[16:17]
	v_fma_f64 v[2:3], -v[2:3], v[32:33], v[30:31]
	v_div_fmas_f64 v[2:3], v[2:3], v[16:17], v[32:33]
	v_div_fixup_f64 v[2:3], v[2:3], v[50:51], s[20:21]
	s_mov_b32 s20, 0
	s_brev_b32 s21, 8
	v_cmp_gt_f64_e32 vcc, s[20:21], v[2:3]
	v_cndmask_b32_e32 v11, 0, v11, vcc
	v_ldexp_f64 v[2:3], v[2:3], v11
	v_mov_b32_e32 v11, 0xffffff80
	v_cndmask_b32_e32 v11, 0, v11, vcc
	v_rsq_f64_e32 v[16:17], v[2:3]
	v_mul_f64 v[30:31], v[2:3], v[16:17]
	v_mul_f64 v[16:17], v[16:17], 0.5
	v_fma_f64 v[32:33], -v[16:17], v[30:31], 0.5
	v_fma_f64 v[30:31], v[30:31], v[32:33], v[30:31]
	v_fma_f64 v[16:17], v[16:17], v[32:33], v[16:17]
	v_fma_f64 v[32:33], -v[30:31], v[30:31], v[2:3]
	v_fma_f64 v[30:31], v[32:33], v[16:17], v[30:31]
	v_fma_f64 v[32:33], -v[30:31], v[30:31], v[2:3]
	v_fma_f64 v[16:17], v[32:33], v[16:17], v[30:31]
	v_mov_b32_e32 v30, 0x260
	v_cmp_class_f64_e32 vcc, v[2:3], v30
	v_ldexp_f64 v[16:17], v[16:17], v11
	v_cndmask_b32_e32 v54, v16, v2, vcc
	buffer_load_dword v2, off, s[0:3], s33 offset:828 ; 4-byte Folded Reload
	v_cndmask_b32_e32 v55, v17, v3, vcc
	s_waitcnt vmcnt(0)
	v_cmp_lt_i32_e32 vcc, 0, v2
	s_and_saveexec_b64 s[20:21], vcc
	s_xor_b64 s[20:21], exec, s[20:21]
	s_cbranch_execz .LBB0_106
; %bb.91:
	buffer_load_dword v2, off, s[0:3], s33 offset:828 ; 4-byte Folded Reload
                                        ; implicit-def: $vgpr44_vgpr45
                                        ; implicit-def: $vgpr56_vgpr57
                                        ; implicit-def: $vgpr41_vgpr42
                                        ; implicit-def: $vgpr58_vgpr59
                                        ; implicit-def: $vgpr52_vgpr53
	s_waitcnt vmcnt(0)
	v_cmp_lt_i32_e32 vcc, 1, v2
	s_and_saveexec_b64 s[22:23], vcc
	s_xor_b64 s[22:23], exec, s[22:23]
	s_cbranch_execz .LBB0_99
; %bb.92:
	buffer_load_dword v2, off, s[0:3], s33 offset:828 ; 4-byte Folded Reload
	v_mov_b32_e32 v44, 0
	v_mov_b32_e32 v56, 0
	;; [unrolled: 1-line block ×10, first 2 shown]
	s_waitcnt vmcnt(0)
	v_cmp_eq_u32_e32 vcc, 2, v2
	s_and_saveexec_b64 s[24:25], vcc
	s_cbranch_execz .LBB0_98
; %bb.93:
	s_mov_b32 s26, 0
	s_mov_b32 s27, 0x40478000
	v_cmp_ngt_f64_e32 vcc, s[26:27], v[50:51]
                                        ; implicit-def: $vgpr44_vgpr45
                                        ; implicit-def: $vgpr56_vgpr57
                                        ; implicit-def: $vgpr41_vgpr42
                                        ; implicit-def: $vgpr58_vgpr59
                                        ; implicit-def: $vgpr52_vgpr53
	s_and_saveexec_b64 s[26:27], vcc
	s_xor_b64 s[26:27], exec, s[26:27]
	s_cbranch_execz .LBB0_95
; %bb.94:
	s_mov_b32 s29, 0xbfc85747
	s_mov_b32 s28, 0x227076b0
	v_add_f64 v[2:3], v[50:51], s[28:29]
	s_mov_b32 s29, 0x3fc85747
	v_div_scale_f64 v[16:17], s[40:41], v[2:3], v[2:3], s[28:29]
	v_rcp_f64_e32 v[30:31], v[16:17]
	v_fma_f64 v[32:33], -v[16:17], v[30:31], 1.0
	v_fma_f64 v[30:31], v[30:31], v[32:33], v[30:31]
	v_fma_f64 v[32:33], -v[16:17], v[30:31], 1.0
	v_fma_f64 v[30:31], v[30:31], v[32:33], v[30:31]
	v_div_scale_f64 v[32:33], vcc, s[28:29], v[2:3], s[28:29]
	v_mul_f64 v[34:35], v[32:33], v[30:31]
	v_fma_f64 v[16:17], -v[16:17], v[34:35], v[32:33]
	s_nop 1
	v_div_fmas_f64 v[16:17], v[16:17], v[30:31], v[34:35]
	v_div_fixup_f64 v[52:53], v[16:17], v[2:3], s[28:29]
	s_mov_b32 s29, 0xbffc8d48
	s_mov_b32 s28, 0x44af141d
	v_add_f64 v[2:3], v[50:51], s[28:29]
	s_mov_b32 s29, 0x3ffc8d48
	v_div_scale_f64 v[16:17], s[40:41], v[2:3], v[2:3], s[28:29]
	v_rcp_f64_e32 v[30:31], v[16:17]
	v_fma_f64 v[32:33], -v[16:17], v[30:31], 1.0
	v_fma_f64 v[30:31], v[30:31], v[32:33], v[30:31]
	v_fma_f64 v[32:33], -v[16:17], v[30:31], 1.0
	v_fma_f64 v[30:31], v[30:31], v[32:33], v[30:31]
	v_div_scale_f64 v[32:33], vcc, s[28:29], v[2:3], s[28:29]
	v_mul_f64 v[34:35], v[32:33], v[30:31]
	v_fma_f64 v[16:17], -v[16:17], v[34:35], v[32:33]
	s_nop 1
	v_div_fmas_f64 v[16:17], v[16:17], v[30:31], v[34:35]
	v_div_fixup_f64 v[58:59], v[16:17], v[2:3], s[28:29]
	s_mov_b32 s29, 0xc01619f3
	s_mov_b32 s28, 0xb5c0b740
	v_add_f64 v[2:3], v[50:51], s[28:29]
	s_mov_b32 s29, 0x401619f3
                                        ; implicit-def: $vgpr50_vgpr51
	v_div_scale_f64 v[16:17], s[40:41], v[2:3], v[2:3], s[28:29]
	s_mov_b32 s41, 0x3f74efde
	s_mov_b32 s40, 0x4d84c79e
	v_mul_f64 v[44:45], v[54:55], s[40:41]
	s_mov_b32 s41, 0xbf74efde
	v_rcp_f64_e32 v[30:31], v[16:17]
	v_fma_f64 v[32:33], -v[16:17], v[30:31], 1.0
	v_fma_f64 v[30:31], v[30:31], v[32:33], v[30:31]
	v_fma_f64 v[32:33], -v[16:17], v[30:31], 1.0
	v_fma_f64 v[30:31], v[30:31], v[32:33], v[30:31]
	v_div_scale_f64 v[32:33], vcc, s[28:29], v[2:3], s[28:29]
	v_mul_f64 v[34:35], v[32:33], v[30:31]
	v_fma_f64 v[16:17], -v[16:17], v[34:35], v[32:33]
	s_nop 1
	v_div_fmas_f64 v[16:17], v[16:17], v[30:31], v[34:35]
	v_div_fixup_f64 v[41:42], v[16:17], v[2:3], s[28:29]
	s_mov_b32 s29, 0x3fc6af85
	s_mov_b32 s28, 0x8329214a
	v_mul_f64 v[56:57], v[54:55], s[28:29]
	s_mov_b32 s29, 0xbfc6af85
	v_fma_f64 v[2:3], v[54:55], s[28:29], v[54:55]
	v_fma_f64 v[54:55], v[54:55], s[40:41], v[2:3]
.LBB0_95:
	s_andn2_saveexec_b64 s[26:27], s[26:27]
	s_cbranch_execz .LBB0_97
; %bb.96:
	s_mov_b32 s28, 0x652b82fe
	s_mov_b32 s29, 0xbff71547
	v_mul_f64 v[2:3], v[50:51], s[28:29]
	s_mov_b32 s28, 0xfefa39ef
	s_mov_b32 s29, 0xbfe62e42
	v_mov_b32_e32 v30, 0xfca7ab0c
	v_mov_b32_e32 v31, 0x3e928af3
	v_rndne_f64_e32 v[2:3], v[2:3]
	v_fma_f64 v[16:17], v[2:3], s[28:29], -v[50:51]
	s_mov_b32 s28, 0x3b39803f
	s_mov_b32 s29, 0xbc7abc9e
	v_fma_f64 v[16:17], v[2:3], s[28:29], v[16:17]
	s_mov_b32 s28, 0x6a5dcb37
	s_mov_b32 s29, 0x3e5ade15
	v_cvt_i32_f64_e32 v2, v[2:3]
	v_mov_b32_e32 v3, 0x40741517
	v_fma_f64 v[30:31], v[16:17], s[28:29], v[30:31]
	s_mov_b32 s28, 0x623fde64
	s_mov_b32 s29, 0x3ec71dee
	v_fma_f64 v[30:31], v[16:17], v[30:31], s[28:29]
	s_mov_b32 s28, 0x7c89e6b0
	s_mov_b32 s29, 0x3efa0199
	;; [unrolled: 3-line block ×9, first 2 shown]
	v_fma_f64 v[30:31], v[16:17], v[30:31], 1.0
	v_fma_f64 v[16:17], v[16:17], v[30:31], 1.0
	v_ldexp_f64 v[46:47], v[16:17], v2
	v_mov_b32_e32 v2, 0xf8d19143
	v_fma_f64 v[2:3], v[50:51], s[28:29], v[2:3]
	s_mov_b32 s28, 0x86a45708
	s_mov_b32 s29, 0xc0af34ac
	v_fma_f64 v[52:53], v[50:51], v[2:3], s[28:29]
	s_mov_b32 s29, 0xbfc85747
	s_mov_b32 s28, 0x227076b0
	v_add_f64 v[2:3], v[50:51], s[28:29]
	s_mov_b32 s29, 0x3fc85747
	v_div_scale_f64 v[16:17], s[40:41], v[2:3], v[2:3], s[28:29]
	v_rcp_f64_e32 v[30:31], v[16:17]
	v_fma_f64 v[32:33], -v[16:17], v[30:31], 1.0
	v_fma_f64 v[30:31], v[30:31], v[32:33], v[30:31]
	v_fma_f64 v[32:33], -v[16:17], v[30:31], 1.0
	v_fma_f64 v[30:31], v[30:31], v[32:33], v[30:31]
	v_div_scale_f64 v[32:33], vcc, s[28:29], v[2:3], s[28:29]
	v_mul_f64 v[34:35], v[32:33], v[30:31]
	v_fma_f64 v[16:17], -v[16:17], v[34:35], v[32:33]
	s_nop 1
	v_div_fmas_f64 v[16:17], v[16:17], v[30:31], v[34:35]
	v_div_fixup_f64 v[2:3], v[16:17], v[2:3], s[28:29]
	s_mov_b32 s28, 0x13f8e283
	s_mov_b32 s29, 0xc05277d9
	v_fma_f64 v[52:53], v[52:53], v[46:47], v[2:3]
	v_mov_b32_e32 v2, 0x3a45ec1c
	v_mov_b32_e32 v3, 0x40a87f66
	v_fma_f64 v[2:3], v[50:51], s[28:29], v[2:3]
	s_mov_b32 s28, 0x2ce6c464
	s_mov_b32 s29, 0xc0e2e3c9
	v_fma_f64 v[2:3], v[50:51], v[2:3], s[28:29]
	s_mov_b32 s29, 0xbffc8d48
	s_mov_b32 s28, 0x44af141d
	v_add_f64 v[16:17], v[50:51], s[28:29]
	s_mov_b32 s29, 0x3ffc8d48
	v_div_scale_f64 v[30:31], s[40:41], v[16:17], v[16:17], s[28:29]
	v_rcp_f64_e32 v[32:33], v[30:31]
	v_fma_f64 v[34:35], -v[30:31], v[32:33], 1.0
	v_fma_f64 v[32:33], v[32:33], v[34:35], v[32:33]
	v_fma_f64 v[34:35], -v[30:31], v[32:33], 1.0
	v_fma_f64 v[32:33], v[32:33], v[34:35], v[32:33]
	v_div_scale_f64 v[34:35], vcc, s[28:29], v[16:17], s[28:29]
	v_mul_f64 v[36:37], v[34:35], v[32:33]
	v_fma_f64 v[30:31], -v[30:31], v[36:37], v[34:35]
	s_nop 1
	v_div_fmas_f64 v[30:31], v[30:31], v[32:33], v[36:37]
	v_div_fixup_f64 v[16:17], v[30:31], v[16:17], s[28:29]
	s_mov_b32 s28, 0x50eddf20
	s_mov_b32 s29, 0xc0707c02
	v_fma_f64 v[58:59], v[2:3], v[46:47], v[16:17]
	v_mov_b32_e32 v2, 0xc25f0059
	;; [unrolled: 25-line block ×3, first 2 shown]
	v_mov_b32_e32 v3, 0xc0209cfd
	v_fma_f64 v[2:3], v[50:51], s[28:29], v[2:3]
	s_mov_b32 s28, 0x993054c7
	s_mov_b32 s29, 0x40681f46
	v_fma_f64 v[2:3], v[50:51], v[2:3], s[28:29]
	s_mov_b32 s28, 0x5cbf58d1
	s_mov_b32 s29, 0xc09a3784
	;; [unrolled: 3-line block ×3, first 2 shown]
	v_mul_f64 v[2:3], v[2:3], v[46:47]
	v_fma_f64 v[44:45], v[54:55], s[28:29], v[2:3]
	s_mov_b32 s28, 0xf24b69ff
	v_mov_b32_e32 v2, 0xea39dc39
	v_mov_b32_e32 v3, 0xc0a6cf9c
	s_mov_b32 s29, 0x404ec0ed
	v_fma_f64 v[2:3], v[50:51], s[28:29], v[2:3]
	s_mov_b32 s28, 0xc516d25b
	s_mov_b32 s29, 0x40e297ed
	v_fma_f64 v[2:3], v[50:51], v[2:3], s[28:29]
	s_mov_b32 s28, 0x8329214a
	s_mov_b32 s29, 0x3fc6af85
	v_mul_f64 v[2:3], v[2:3], v[46:47]
	v_fma_f64 v[56:57], v[54:55], s[28:29], v[2:3]
	v_add_f64 v[2:3], v[54:55], -v[56:57]
	v_add_f64 v[54:55], v[2:3], -v[44:45]
.LBB0_97:
	s_or_b64 exec, exec, s[26:27]
.LBB0_98:
	s_or_b64 exec, exec, s[24:25]
                                        ; implicit-def: $vgpr50_vgpr51
.LBB0_99:
	s_andn2_saveexec_b64 s[22:23], s[22:23]
	s_cbranch_execz .LBB0_105
; %bb.100:
	s_mov_b32 s24, 0
	s_mov_b32 s25, 0x40440000
	v_cmp_ngt_f64_e32 vcc, s[24:25], v[50:51]
                                        ; implicit-def: $vgpr56_vgpr57
                                        ; implicit-def: $vgpr58_vgpr59
                                        ; implicit-def: $vgpr52_vgpr53
	s_and_saveexec_b64 s[24:25], vcc
	s_xor_b64 s[24:25], exec, s[24:25]
	s_cbranch_execz .LBB0_102
; %bb.101:
	s_mov_b32 s27, 0xbfd19dc7
	s_mov_b32 s26, 0xafdb7b47
	v_add_f64 v[2:3], v[50:51], s[26:27]
	s_mov_b32 s27, 0x3fd19dc7
	v_div_scale_f64 v[16:17], s[28:29], v[2:3], v[2:3], s[26:27]
	v_rcp_f64_e32 v[30:31], v[16:17]
	v_fma_f64 v[32:33], -v[16:17], v[30:31], 1.0
	v_fma_f64 v[30:31], v[30:31], v[32:33], v[30:31]
	v_fma_f64 v[32:33], -v[16:17], v[30:31], 1.0
	v_fma_f64 v[30:31], v[30:31], v[32:33], v[30:31]
	v_div_scale_f64 v[32:33], vcc, s[26:27], v[2:3], s[26:27]
	v_mul_f64 v[34:35], v[32:33], v[30:31]
	v_fma_f64 v[16:17], -v[16:17], v[34:35], v[32:33]
	s_nop 1
	v_div_fmas_f64 v[16:17], v[16:17], v[30:31], v[34:35]
	v_div_fixup_f64 v[52:53], v[16:17], v[2:3], s[26:27]
	s_mov_b32 s27, 0xc005cc47
	s_mov_b32 s26, 0xa049083
	v_add_f64 v[2:3], v[50:51], s[26:27]
	s_mov_b32 s27, 0x4005cc47
                                        ; implicit-def: $vgpr50_vgpr51
	v_div_scale_f64 v[16:17], s[28:29], v[2:3], v[2:3], s[26:27]
	v_rcp_f64_e32 v[30:31], v[16:17]
	v_fma_f64 v[32:33], -v[16:17], v[30:31], 1.0
	v_fma_f64 v[30:31], v[30:31], v[32:33], v[30:31]
	v_fma_f64 v[32:33], -v[16:17], v[30:31], 1.0
	v_fma_f64 v[30:31], v[30:31], v[32:33], v[30:31]
	v_div_scale_f64 v[32:33], vcc, s[26:27], v[2:3], s[26:27]
	v_mul_f64 v[34:35], v[32:33], v[30:31]
	v_fma_f64 v[16:17], -v[16:17], v[34:35], v[32:33]
	s_nop 1
	v_div_fmas_f64 v[16:17], v[16:17], v[30:31], v[34:35]
	v_div_fixup_f64 v[58:59], v[16:17], v[2:3], s[26:27]
	s_mov_b32 s27, 0x3fb77d0a
	s_mov_b32 s26, 0x3fcf4f02
	v_mul_f64 v[56:57], v[54:55], s[26:27]
	s_mov_b32 s27, 0xbfb77d0a
	v_fma_f64 v[54:55], v[54:55], s[26:27], v[54:55]
.LBB0_102:
	s_andn2_saveexec_b64 s[24:25], s[24:25]
	s_cbranch_execz .LBB0_104
; %bb.103:
	s_mov_b32 s26, 0x652b82fe
	s_mov_b32 s27, 0xbff71547
	v_mul_f64 v[2:3], v[50:51], s[26:27]
	s_mov_b32 s26, 0xfefa39ef
	s_mov_b32 s27, 0xbfe62e42
	v_mov_b32_e32 v30, 0xfca7ab0c
	v_mov_b32_e32 v31, 0x3e928af3
	v_rndne_f64_e32 v[2:3], v[2:3]
	v_fma_f64 v[16:17], v[2:3], s[26:27], -v[50:51]
	s_mov_b32 s26, 0x3b39803f
	s_mov_b32 s27, 0xbc7abc9e
	v_fma_f64 v[16:17], v[2:3], s[26:27], v[16:17]
	s_mov_b32 s26, 0x6a5dcb37
	s_mov_b32 s27, 0x3e5ade15
	v_cvt_i32_f64_e32 v2, v[2:3]
	v_mov_b32_e32 v3, 0x4025d947
	v_fma_f64 v[30:31], v[16:17], s[26:27], v[30:31]
	s_mov_b32 s26, 0x623fde64
	s_mov_b32 s27, 0x3ec71dee
	v_fma_f64 v[30:31], v[16:17], v[30:31], s[26:27]
	s_mov_b32 s26, 0x7c89e6b0
	s_mov_b32 s27, 0x3efa0199
	;; [unrolled: 3-line block ×9, first 2 shown]
	v_fma_f64 v[30:31], v[16:17], v[30:31], 1.0
	v_fma_f64 v[16:17], v[16:17], v[30:31], 1.0
	v_ldexp_f64 v[41:42], v[16:17], v2
	v_mov_b32_e32 v2, 0xe207c6a
	v_fma_f64 v[52:53], v[50:51], s[26:27], v[2:3]
	s_mov_b32 s27, 0xbfd19dc7
	s_mov_b32 s26, 0xafdb7b47
	v_add_f64 v[2:3], v[50:51], s[26:27]
	s_mov_b32 s27, 0x3fd19dc7
	v_div_scale_f64 v[16:17], s[28:29], v[2:3], v[2:3], s[26:27]
	v_rcp_f64_e32 v[30:31], v[16:17]
	v_fma_f64 v[32:33], -v[16:17], v[30:31], 1.0
	v_fma_f64 v[30:31], v[30:31], v[32:33], v[30:31]
	v_fma_f64 v[32:33], -v[16:17], v[30:31], 1.0
	v_fma_f64 v[30:31], v[30:31], v[32:33], v[30:31]
	v_div_scale_f64 v[32:33], vcc, s[26:27], v[2:3], s[26:27]
	v_mul_f64 v[34:35], v[32:33], v[30:31]
	v_fma_f64 v[16:17], -v[16:17], v[34:35], v[32:33]
	s_nop 1
	v_div_fmas_f64 v[16:17], v[16:17], v[30:31], v[34:35]
	v_div_fixup_f64 v[2:3], v[16:17], v[2:3], s[26:27]
	s_mov_b32 s26, 0xf39dd3e0
	s_mov_b32 s27, 0xc02293fc
	v_fma_f64 v[52:53], v[52:53], v[41:42], v[2:3]
	v_mov_b32_e32 v2, 0x749a077d
	v_mov_b32_e32 v3, 0x4054441c
	v_fma_f64 v[44:45], v[50:51], s[26:27], v[2:3]
	s_mov_b32 s27, 0xc005cc47
	s_mov_b32 s26, 0xa049083
	v_add_f64 v[46:47], v[50:51], s[26:27]
	s_mov_b32 s27, 0x4005cc47
	v_div_scale_f64 v[2:3], s[28:29], v[46:47], v[46:47], s[26:27]
	v_rcp_f64_e32 v[16:17], v[2:3]
	v_fma_f64 v[30:31], -v[2:3], v[16:17], 1.0
	v_fma_f64 v[16:17], v[16:17], v[30:31], v[16:17]
	v_fma_f64 v[30:31], -v[2:3], v[16:17], 1.0
	v_fma_f64 v[16:17], v[16:17], v[30:31], v[16:17]
	v_div_scale_f64 v[30:31], vcc, s[26:27], v[46:47], s[26:27]
	v_mul_f64 v[32:33], v[30:31], v[16:17]
	v_fma_f64 v[2:3], -v[2:3], v[32:33], v[30:31]
	s_nop 1
	v_div_fmas_f64 v[2:3], v[2:3], v[16:17], v[32:33]
	v_div_fixup_f64 v[2:3], v[2:3], v[46:47], s[26:27]
	s_mov_b32 s26, 0xd5aa3881
	s_mov_b32 s27, 0x4011dfd1
	v_fma_f64 v[58:59], v[44:45], v[41:42], v[2:3]
	v_mov_b32_e32 v2, 0x45480ba2
	v_mov_b32_e32 v3, 0xc0537b34
	v_fma_f64 v[2:3], v[50:51], s[26:27], v[2:3]
	s_mov_b32 s26, 0x3fcf4f02
	s_mov_b32 s27, 0x3fb77d0a
	v_mul_f64 v[2:3], v[2:3], v[41:42]
	v_fma_f64 v[56:57], v[54:55], s[26:27], v[2:3]
	v_add_f64 v[54:55], v[54:55], -v[56:57]
.LBB0_104:
	s_or_b64 exec, exec, s[24:25]
	v_mov_b32_e32 v44, 0
	v_mov_b32_e32 v41, 0
	;; [unrolled: 1-line block ×4, first 2 shown]
.LBB0_105:
	s_or_b64 exec, exec, s[22:23]
                                        ; implicit-def: $vgpr50_vgpr51
.LBB0_106:
	s_andn2_saveexec_b64 s[20:21], s[20:21]
	s_cbranch_execz .LBB0_110
; %bb.107:
	buffer_load_dword v2, off, s[0:3], s33 offset:828 ; 4-byte Folded Reload
	v_mov_b32_e32 v44, 0
	v_mov_b32_e32 v52, 0
	;; [unrolled: 1-line block ×4, first 2 shown]
	s_waitcnt vmcnt(0)
	v_cmp_eq_u32_e32 vcc, 0, v2
	s_and_saveexec_b64 s[22:23], vcc
	s_cbranch_execz .LBB0_109
; %bb.108:
	v_add_f64 v[2:3], v[50:51], -0.5
	v_div_scale_f64 v[16:17], s[24:25], v[2:3], v[2:3], 0.5
	v_div_scale_f64 v[34:35], vcc, 0.5, v[2:3], 0.5
	v_rcp_f64_e32 v[30:31], v[16:17]
	v_fma_f64 v[32:33], -v[16:17], v[30:31], 1.0
	v_fma_f64 v[30:31], v[30:31], v[32:33], v[30:31]
	v_fma_f64 v[32:33], -v[16:17], v[30:31], 1.0
	v_fma_f64 v[30:31], v[30:31], v[32:33], v[30:31]
	v_mul_f64 v[32:33], v[34:35], v[30:31]
	v_fma_f64 v[16:17], -v[16:17], v[32:33], v[34:35]
	v_div_fmas_f64 v[16:17], v[16:17], v[30:31], v[32:33]
	v_div_fixup_f64 v[52:53], v[16:17], v[2:3], 0.5
.LBB0_109:
	s_or_b64 exec, exec, s[22:23]
	v_mov_b32_e32 v56, 0
	v_mov_b32_e32 v41, 0
	;; [unrolled: 1-line block ×6, first 2 shown]
.LBB0_110:
	s_or_b64 exec, exec, s[20:21]
                                        ; implicit-def: $vgpr50_vgpr51
.LBB0_111:
	s_andn2_saveexec_b64 s[18:19], s[18:19]
	s_cbranch_execz .LBB0_129
; %bb.112:
	s_mov_b32 s20, 0x652b82fe
	s_mov_b32 s21, 0xbff71547
	v_mul_f64 v[2:3], v[50:51], s[20:21]
	s_mov_b32 s20, 0xfefa39ef
	s_mov_b32 s21, 0xbfe62e42
	v_mov_b32_e32 v30, 0xfca7ab0c
	v_mov_b32_e32 v31, 0x3e928af3
	;; [unrolled: 1-line block ×3, first 2 shown]
	v_add_f64 v[38:39], v[50:51], v[50:51]
                                        ; implicit-def: $vgpr44_vgpr45
                                        ; implicit-def: $vgpr56_vgpr57
                                        ; implicit-def: $vgpr41_vgpr42
                                        ; implicit-def: $vgpr58_vgpr59
	v_rndne_f64_e32 v[2:3], v[2:3]
	v_fma_f64 v[16:17], v[2:3], s[20:21], -v[50:51]
	s_mov_b32 s20, 0x3b39803f
	s_mov_b32 s21, 0xbc7abc9e
	v_fma_f64 v[16:17], v[2:3], s[20:21], v[16:17]
	s_mov_b32 s20, 0x6a5dcb37
	s_mov_b32 s21, 0x3e5ade15
	v_cvt_i32_f64_e32 v2, v[2:3]
	v_fma_f64 v[30:31], v[16:17], s[20:21], v[30:31]
	s_mov_b32 s20, 0x623fde64
	s_mov_b32 s21, 0x3ec71dee
	v_fma_f64 v[30:31], v[16:17], v[30:31], s[20:21]
	s_mov_b32 s20, 0x7c89e6b0
	s_mov_b32 s21, 0x3efa0199
	;; [unrolled: 3-line block ×9, first 2 shown]
	v_fma_f64 v[30:31], v[16:17], v[30:31], 1.0
	v_fma_f64 v[16:17], v[16:17], v[30:31], 1.0
	s_waitcnt vmcnt(1)
	v_ldexp_f64 v[46:47], v[16:17], v2
	v_div_scale_f64 v[2:3], s[22:23], v[50:51], v[50:51], s[20:21]
	v_rcp_f64_e32 v[16:17], v[2:3]
	v_fma_f64 v[30:31], -v[2:3], v[16:17], 1.0
	v_fma_f64 v[16:17], v[16:17], v[30:31], v[16:17]
	v_fma_f64 v[30:31], -v[2:3], v[16:17], 1.0
	v_fma_f64 v[16:17], v[16:17], v[30:31], v[16:17]
	v_div_scale_f64 v[30:31], vcc, s[20:21], v[50:51], s[20:21]
	v_mul_f64 v[32:33], v[30:31], v[16:17]
	v_fma_f64 v[2:3], -v[2:3], v[32:33], v[30:31]
	s_nop 1
	v_div_fmas_f64 v[2:3], v[2:3], v[16:17], v[32:33]
	v_div_fixup_f64 v[2:3], v[2:3], v[50:51], s[20:21]
	s_mov_b32 s20, 0x80245b5f
	s_mov_b32 s21, 0xbfdfce11
	v_add_f64 v[2:3], v[2:3], s[20:21]
	v_div_scale_f64 v[16:17], s[20:21], v[50:51], v[50:51], v[2:3]
	s_mov_b32 s20, 0x6403a8cf
	s_mov_b32 s21, 0xbf0f8a14
	v_rcp_f64_e32 v[30:31], v[16:17]
	v_fma_f64 v[32:33], -v[16:17], v[30:31], 1.0
	v_fma_f64 v[30:31], v[30:31], v[32:33], v[30:31]
	v_fma_f64 v[32:33], -v[16:17], v[30:31], 1.0
	v_fma_f64 v[30:31], v[30:31], v[32:33], v[30:31]
	v_div_scale_f64 v[32:33], vcc, v[2:3], v[50:51], v[2:3]
	v_mul_f64 v[34:35], v[32:33], v[30:31]
	v_fma_f64 v[16:17], -v[16:17], v[34:35], v[32:33]
	s_nop 1
	v_div_fmas_f64 v[16:17], v[16:17], v[30:31], v[34:35]
	v_div_fixup_f64 v[2:3], v[16:17], v[50:51], v[2:3]
	v_add_f64 v[52:53], v[2:3], s[20:21]
	s_mov_b32 s20, 0x54442d15
	s_mov_b32 s21, 0x3fe921fb
	v_div_scale_f64 v[2:3], s[22:23], v[50:51], v[50:51], s[20:21]
	v_rcp_f64_e32 v[16:17], v[2:3]
	v_fma_f64 v[30:31], -v[2:3], v[16:17], 1.0
	v_fma_f64 v[16:17], v[16:17], v[30:31], v[16:17]
	v_fma_f64 v[30:31], -v[2:3], v[16:17], 1.0
	v_fma_f64 v[16:17], v[16:17], v[30:31], v[16:17]
	v_div_scale_f64 v[30:31], vcc, s[20:21], v[50:51], s[20:21]
	v_mul_f64 v[32:33], v[30:31], v[16:17]
	v_fma_f64 v[2:3], -v[2:3], v[32:33], v[30:31]
	s_nop 1
	v_div_fmas_f64 v[2:3], v[2:3], v[16:17], v[32:33]
	v_div_fixup_f64 v[2:3], v[2:3], v[50:51], s[20:21]
	s_mov_b32 s20, 0
	s_brev_b32 s21, 8
	v_cmp_gt_f64_e32 vcc, s[20:21], v[2:3]
	v_cndmask_b32_e32 v11, 0, v11, vcc
	v_ldexp_f64 v[48:49], v[2:3], v11
	v_mov_b32_e32 v11, 0xffffff80
	v_cndmask_b32_e32 v11, 0, v11, vcc
	v_rsq_f64_e32 v[2:3], v[48:49]
	v_mul_f64 v[16:17], v[48:49], v[2:3]
	v_mul_f64 v[2:3], v[2:3], 0.5
	v_fma_f64 v[30:31], -v[2:3], v[16:17], 0.5
	v_fma_f64 v[16:17], v[16:17], v[30:31], v[16:17]
	v_fma_f64 v[2:3], v[2:3], v[30:31], v[2:3]
	v_fma_f64 v[32:33], -v[16:17], v[16:17], v[48:49]
	v_fma_f64 v[16:17], v[32:33], v[2:3], v[16:17]
	v_fma_f64 v[30:31], -v[16:17], v[16:17], v[48:49]
	v_fma_f64 v[2:3], v[30:31], v[2:3], v[16:17]
	v_ldexp_f64 v[2:3], v[2:3], v11
	v_mov_b32_e32 v11, 0x260
	v_cmp_class_f64_e32 vcc, v[48:49], v11
	v_cndmask_b32_e32 v3, v3, v49, vcc
	v_cndmask_b32_e32 v2, v2, v48, vcc
	v_fma_f64 v[54:55], v[52:53], v[46:47], v[2:3]
                                        ; implicit-def: $vgpr52_vgpr53
	v_add_f64 v[2:3], v[54:55], -v[46:47]
	v_div_scale_f64 v[16:17], s[20:21], v[38:39], v[38:39], v[2:3]
	v_rcp_f64_e32 v[30:31], v[16:17]
	v_fma_f64 v[32:33], -v[16:17], v[30:31], 1.0
	v_fma_f64 v[30:31], v[30:31], v[32:33], v[30:31]
	v_fma_f64 v[32:33], -v[16:17], v[30:31], 1.0
	v_fma_f64 v[30:31], v[30:31], v[32:33], v[30:31]
	v_div_scale_f64 v[32:33], vcc, v[2:3], v[38:39], v[2:3]
	v_mul_f64 v[34:35], v[32:33], v[30:31]
	v_fma_f64 v[16:17], -v[16:17], v[34:35], v[32:33]
	s_nop 1
	v_div_fmas_f64 v[16:17], v[16:17], v[30:31], v[34:35]
	v_div_fixup_f64 v[0:1], v[16:17], v[38:39], v[2:3]
	buffer_load_dword v2, off, s[0:3], s33 offset:828 ; 4-byte Folded Reload
	s_waitcnt vmcnt(0)
	v_cmp_lt_i32_e32 vcc, 0, v2
	s_and_saveexec_b64 s[20:21], vcc
	s_xor_b64 s[20:21], exec, s[20:21]
	s_cbranch_execz .LBB0_124
; %bb.113:
	buffer_load_dword v2, off, s[0:3], s33 offset:828 ; 4-byte Folded Reload
                                        ; implicit-def: $vgpr44_vgpr45
                                        ; implicit-def: $vgpr56_vgpr57
                                        ; implicit-def: $vgpr41_vgpr42
                                        ; implicit-def: $vgpr58_vgpr59
                                        ; implicit-def: $vgpr52_vgpr53
	s_waitcnt vmcnt(0)
	v_cmp_lt_i32_e32 vcc, 1, v2
	s_and_saveexec_b64 s[22:23], vcc
	s_xor_b64 s[22:23], exec, s[22:23]
	s_cbranch_execz .LBB0_121
; %bb.114:
	buffer_load_dword v2, off, s[0:3], s33 offset:828 ; 4-byte Folded Reload
	v_mov_b32_e32 v44, 0
	v_mov_b32_e32 v56, 0
	;; [unrolled: 1-line block ×10, first 2 shown]
	s_waitcnt vmcnt(0)
	v_cmp_eq_u32_e32 vcc, 2, v2
	s_and_saveexec_b64 s[24:25], vcc
	s_cbranch_execz .LBB0_120
; %bb.115:
	s_mov_b32 s26, 0
	s_mov_b32 s27, 0x40340000
	v_cmp_ngt_f64_e32 vcc, s[26:27], v[50:51]
                                        ; implicit-def: $vgpr58_vgpr59
                                        ; implicit-def: $vgpr52_vgpr53
                                        ; implicit-def: $vgpr41_vgpr42
	s_and_saveexec_b64 s[26:27], vcc
	s_xor_b64 s[26:27], exec, s[26:27]
	s_cbranch_execz .LBB0_117
; %bb.116:
	s_mov_b32 s28, 0x43c565e2
	v_mov_b32_e32 v2, 0xd1a1d69c
	v_mov_b32_e32 v3, 0xbfa9a5c8
	s_mov_b32 s29, 0xbf404dd9
	v_fma_f64 v[2:3], v[50:51], s[28:29], v[2:3]
	s_mov_b32 s28, 0x244805bc
	s_mov_b32 s29, 0x3ff4f9d2
	v_fma_f64 v[2:3], v[50:51], v[2:3], s[28:29]
	s_mov_b32 s28, 0x7dd2f38c
	;; [unrolled: 3-line block ×3, first 2 shown]
	s_mov_b32 s29, 0xc084a2c2
	v_div_scale_f64 v[16:17], s[40:41], v[50:51], v[50:51], s[28:29]
	v_rcp_f64_e32 v[30:31], v[16:17]
	v_fma_f64 v[32:33], -v[16:17], v[30:31], 1.0
	v_fma_f64 v[30:31], v[30:31], v[32:33], v[30:31]
	v_fma_f64 v[32:33], -v[16:17], v[30:31], 1.0
	v_fma_f64 v[30:31], v[30:31], v[32:33], v[30:31]
	v_div_scale_f64 v[32:33], vcc, s[28:29], v[50:51], s[28:29]
	v_mul_f64 v[34:35], v[32:33], v[30:31]
	v_fma_f64 v[16:17], -v[16:17], v[34:35], v[32:33]
	s_nop 1
	v_div_fmas_f64 v[16:17], v[16:17], v[30:31], v[34:35]
	v_div_fixup_f64 v[16:17], v[16:17], v[50:51], s[28:29]
	s_mov_b32 s28, 0x8a43a1c2
	s_mov_b32 s29, 0x40649dce
	v_fma_f64 v[2:3], v[50:51], v[2:3], v[16:17]
	v_add_f64 v[2:3], v[2:3], s[28:29]
	s_mov_b32 s29, 0xbfc85747
	s_mov_b32 s28, 0x227076b0
	v_add_f64 v[16:17], v[50:51], s[28:29]
	s_mov_b32 s29, 0x3fc85747
	v_div_scale_f64 v[30:31], s[40:41], v[16:17], v[16:17], s[28:29]
	v_rcp_f64_e32 v[32:33], v[30:31]
	v_fma_f64 v[34:35], -v[30:31], v[32:33], 1.0
	v_fma_f64 v[32:33], v[32:33], v[34:35], v[32:33]
	v_fma_f64 v[34:35], -v[30:31], v[32:33], 1.0
	v_fma_f64 v[32:33], v[32:33], v[34:35], v[32:33]
	v_div_scale_f64 v[34:35], vcc, s[28:29], v[16:17], s[28:29]
	v_mul_f64 v[36:37], v[34:35], v[32:33]
	v_fma_f64 v[30:31], -v[30:31], v[36:37], v[34:35]
	s_nop 1
	v_div_fmas_f64 v[30:31], v[30:31], v[32:33], v[36:37]
	v_div_fixup_f64 v[16:17], v[30:31], v[16:17], s[28:29]
	s_mov_b32 s28, 0x71a9f002
	s_mov_b32 s29, 0xbf725bea
	v_fma_f64 v[52:53], v[2:3], v[46:47], v[16:17]
	v_mov_b32_e32 v2, 0x43d051e1
	v_mov_b32_e32 v3, 0xbfe08e52
	v_fma_f64 v[2:3], v[50:51], s[28:29], v[2:3]
	s_mov_b32 s28, 0x71f2e80a
	s_mov_b32 s29, 0x4026bcfb
	v_fma_f64 v[2:3], v[50:51], v[2:3], s[28:29]
	s_mov_b32 s28, 0x2b1324d
	s_mov_b32 s29, 0xc064ada5
	;; [unrolled: 3-line block ×3, first 2 shown]
	v_div_scale_f64 v[16:17], s[40:41], v[50:51], v[50:51], s[28:29]
	v_rcp_f64_e32 v[30:31], v[16:17]
	v_fma_f64 v[32:33], -v[16:17], v[30:31], 1.0
	v_fma_f64 v[30:31], v[30:31], v[32:33], v[30:31]
	v_fma_f64 v[32:33], -v[16:17], v[30:31], 1.0
	v_fma_f64 v[30:31], v[30:31], v[32:33], v[30:31]
	v_div_scale_f64 v[32:33], vcc, s[28:29], v[50:51], s[28:29]
	v_mul_f64 v[34:35], v[32:33], v[30:31]
	v_fma_f64 v[16:17], -v[16:17], v[34:35], v[32:33]
	s_nop 1
	v_div_fmas_f64 v[16:17], v[16:17], v[30:31], v[34:35]
	v_div_fixup_f64 v[16:17], v[16:17], v[50:51], s[28:29]
	s_mov_b32 s28, 0x32ede694
	s_mov_b32 s29, 0x4097c945
	v_fma_f64 v[2:3], v[50:51], v[2:3], v[16:17]
	v_add_f64 v[2:3], v[2:3], s[28:29]
	s_mov_b32 s29, 0xbffc8d48
	s_mov_b32 s28, 0x44af141d
	v_add_f64 v[16:17], v[50:51], s[28:29]
	s_mov_b32 s29, 0x3ffc8d48
	v_div_scale_f64 v[30:31], s[40:41], v[16:17], v[16:17], s[28:29]
	v_rcp_f64_e32 v[32:33], v[30:31]
	v_fma_f64 v[34:35], -v[30:31], v[32:33], 1.0
	v_fma_f64 v[32:33], v[32:33], v[34:35], v[32:33]
	v_fma_f64 v[34:35], -v[30:31], v[32:33], 1.0
	v_fma_f64 v[32:33], v[32:33], v[34:35], v[32:33]
	v_div_scale_f64 v[34:35], vcc, s[28:29], v[16:17], s[28:29]
	v_mul_f64 v[36:37], v[34:35], v[32:33]
	v_fma_f64 v[30:31], -v[30:31], v[36:37], v[34:35]
	s_nop 1
	v_div_fmas_f64 v[30:31], v[30:31], v[32:33], v[36:37]
	v_div_fixup_f64 v[16:17], v[30:31], v[16:17], s[28:29]
	s_mov_b32 s28, 0xf1a94fb7
	s_mov_b32 s29, 0xbf8c567f
	v_fma_f64 v[58:59], v[2:3], v[46:47], v[16:17]
	v_mov_b32_e32 v2, 0x5839f8b4
	v_mov_b32_e32 v3, 0xbffc5df0
	v_fma_f64 v[2:3], v[50:51], s[28:29], v[2:3]
	s_mov_b32 s28, 0xe792fa1f
	s_mov_b32 s29, 0x40315d28
	v_fma_f64 v[2:3], v[50:51], v[2:3], s[28:29]
	s_mov_b32 s28, 0x8a41e8b7
	s_mov_b32 s29, 0xc07659d7
	;; [unrolled: 3-line block ×3, first 2 shown]
	v_div_scale_f64 v[44:45], s[40:41], v[50:51], v[50:51], s[28:29]
	v_rcp_f64_e32 v[2:3], v[44:45]
	v_fma_f64 v[16:17], -v[44:45], v[2:3], 1.0
	v_fma_f64 v[2:3], v[2:3], v[16:17], v[2:3]
	v_fma_f64 v[16:17], -v[44:45], v[2:3], 1.0
	v_fma_f64 v[2:3], v[2:3], v[16:17], v[2:3]
	v_div_scale_f64 v[16:17], vcc, s[28:29], v[50:51], s[28:29]
	v_mul_f64 v[30:31], v[16:17], v[2:3]
	v_fma_f64 v[16:17], -v[44:45], v[30:31], v[16:17]
	s_nop 1
	v_div_fmas_f64 v[2:3], v[16:17], v[2:3], v[30:31]
	v_div_fixup_f64 v[2:3], v[2:3], v[50:51], s[28:29]
	s_mov_b32 s28, 0xe32ed6f6
	s_mov_b32 s29, 0x40a514a2
	v_fma_f64 v[2:3], v[50:51], v[41:42], v[2:3]
	v_add_f64 v[41:42], v[2:3], s[28:29]
.LBB0_117:
	s_andn2_saveexec_b64 s[26:27], s[26:27]
	s_cbranch_execz .LBB0_119
; %bb.118:
	s_mov_b32 s28, 0x6916718b
	v_mov_b32_e32 v2, 0xcdc8f5a5
	v_mov_b32_e32 v3, 0x3f377496
	s_mov_b32 s29, 0xbec46834
	v_fma_f64 v[2:3], v[50:51], s[28:29], v[2:3]
	s_mov_b32 s28, 0xd417330e
	s_mov_b32 s29, 0xbf97f91d
	v_fma_f64 v[2:3], v[50:51], v[2:3], s[28:29]
	s_mov_b32 s28, 0x4e35aec3
	;; [unrolled: 3-line block ×5, first 2 shown]
	s_mov_b32 s29, 0xc0d34c49
	v_div_scale_f64 v[16:17], s[40:41], v[50:51], v[50:51], s[28:29]
	v_rcp_f64_e32 v[30:31], v[16:17]
	v_fma_f64 v[32:33], -v[16:17], v[30:31], 1.0
	v_fma_f64 v[30:31], v[30:31], v[32:33], v[30:31]
	v_fma_f64 v[32:33], -v[16:17], v[30:31], 1.0
	v_fma_f64 v[30:31], v[30:31], v[32:33], v[30:31]
	v_div_scale_f64 v[32:33], vcc, s[28:29], v[50:51], s[28:29]
	v_mul_f64 v[34:35], v[32:33], v[30:31]
	v_fma_f64 v[16:17], -v[16:17], v[34:35], v[32:33]
	s_nop 1
	v_div_fmas_f64 v[16:17], v[16:17], v[30:31], v[34:35]
	v_div_fixup_f64 v[16:17], v[16:17], v[50:51], s[28:29]
	s_mov_b32 s28, 0xf1fad81f
	s_mov_b32 s29, 0x40c33034
	v_add_f64 v[16:17], v[16:17], s[28:29]
	v_div_scale_f64 v[30:31], s[28:29], v[50:51], v[50:51], v[16:17]
	s_mov_b32 s28, 0xebf84c5c
	s_mov_b32 s29, 0xc0a03f69
	v_rcp_f64_e32 v[32:33], v[30:31]
	v_fma_f64 v[34:35], -v[30:31], v[32:33], 1.0
	v_fma_f64 v[32:33], v[32:33], v[34:35], v[32:33]
	v_fma_f64 v[34:35], -v[30:31], v[32:33], 1.0
	v_fma_f64 v[32:33], v[32:33], v[34:35], v[32:33]
	v_div_scale_f64 v[34:35], vcc, v[16:17], v[50:51], v[16:17]
	v_mul_f64 v[36:37], v[34:35], v[32:33]
	v_fma_f64 v[30:31], -v[30:31], v[36:37], v[34:35]
	s_nop 1
	v_div_fmas_f64 v[30:31], v[30:31], v[32:33], v[36:37]
	v_div_fixup_f64 v[16:17], v[30:31], v[50:51], v[16:17]
	v_fma_f64 v[2:3], v[50:51], v[2:3], v[16:17]
	v_add_f64 v[2:3], v[2:3], s[28:29]
	s_mov_b32 s29, 0xbfc85747
	s_mov_b32 s28, 0x227076b0
	v_add_f64 v[16:17], v[50:51], s[28:29]
	s_mov_b32 s29, 0x3fc85747
	v_div_scale_f64 v[30:31], s[40:41], v[16:17], v[16:17], s[28:29]
	v_rcp_f64_e32 v[32:33], v[30:31]
	v_fma_f64 v[34:35], -v[30:31], v[32:33], 1.0
	v_fma_f64 v[32:33], v[32:33], v[34:35], v[32:33]
	v_fma_f64 v[34:35], -v[30:31], v[32:33], 1.0
	v_fma_f64 v[32:33], v[32:33], v[34:35], v[32:33]
	v_div_scale_f64 v[34:35], vcc, s[28:29], v[16:17], s[28:29]
	v_mul_f64 v[36:37], v[34:35], v[32:33]
	v_fma_f64 v[30:31], -v[30:31], v[36:37], v[34:35]
	s_nop 1
	v_div_fmas_f64 v[30:31], v[30:31], v[32:33], v[36:37]
	v_div_fixup_f64 v[16:17], v[30:31], v[16:17], s[28:29]
	s_mov_b32 s28, 0x6c5315c4
	s_mov_b32 s29, 0xbf313626
	v_fma_f64 v[52:53], v[2:3], v[46:47], v[16:17]
	v_mov_b32_e32 v2, 0x3ff9717c
	v_mov_b32_e32 v3, 0x3fa1e0e0
	v_fma_f64 v[2:3], v[50:51], s[28:29], v[2:3]
	s_mov_b32 s28, 0x3b61349
	s_mov_b32 s29, 0xc008bf3c
	v_fma_f64 v[2:3], v[50:51], v[2:3], s[28:29]
	s_mov_b32 s28, 0x84b0a871
	s_mov_b32 s29, 0x405ac260
	;; [unrolled: 3-line block ×4, first 2 shown]
	v_div_scale_f64 v[2:3], s[40:41], v[50:51], v[50:51], s[28:29]
	v_rcp_f64_e32 v[16:17], v[2:3]
	v_fma_f64 v[30:31], -v[2:3], v[16:17], 1.0
	v_fma_f64 v[16:17], v[16:17], v[30:31], v[16:17]
	v_fma_f64 v[30:31], -v[2:3], v[16:17], 1.0
	v_fma_f64 v[16:17], v[16:17], v[30:31], v[16:17]
	v_div_scale_f64 v[30:31], vcc, s[28:29], v[50:51], s[28:29]
	v_mul_f64 v[32:33], v[30:31], v[16:17]
	v_fma_f64 v[2:3], -v[2:3], v[32:33], v[30:31]
	s_nop 1
	v_div_fmas_f64 v[2:3], v[2:3], v[16:17], v[32:33]
	v_div_fixup_f64 v[2:3], v[2:3], v[50:51], s[28:29]
	s_mov_b32 s28, 0xd790047
	s_mov_b32 s29, 0x413588df
	v_add_f64 v[2:3], v[2:3], s[28:29]
	v_div_scale_f64 v[16:17], s[28:29], v[50:51], v[50:51], v[2:3]
	s_mov_b32 s28, 0x577bf3db
	s_mov_b32 s29, 0xc111cb31
	v_rcp_f64_e32 v[30:31], v[16:17]
	v_fma_f64 v[32:33], -v[16:17], v[30:31], 1.0
	v_fma_f64 v[30:31], v[30:31], v[32:33], v[30:31]
	v_fma_f64 v[32:33], -v[16:17], v[30:31], 1.0
	v_fma_f64 v[30:31], v[30:31], v[32:33], v[30:31]
	v_div_scale_f64 v[32:33], vcc, v[2:3], v[50:51], v[2:3]
	v_mul_f64 v[34:35], v[32:33], v[30:31]
	v_fma_f64 v[16:17], -v[16:17], v[34:35], v[32:33]
	s_nop 1
	v_div_fmas_f64 v[16:17], v[16:17], v[30:31], v[34:35]
	v_div_fixup_f64 v[2:3], v[16:17], v[50:51], v[2:3]
	v_add_f64 v[2:3], v[2:3], s[28:29]
	v_div_scale_f64 v[16:17], s[28:29], v[50:51], v[50:51], v[2:3]
	s_mov_b32 s28, 0x316d409b
	s_mov_b32 s29, 0x40e05e09
	v_rcp_f64_e32 v[30:31], v[16:17]
	v_fma_f64 v[32:33], -v[16:17], v[30:31], 1.0
	v_fma_f64 v[30:31], v[30:31], v[32:33], v[30:31]
	v_fma_f64 v[32:33], -v[16:17], v[30:31], 1.0
	v_fma_f64 v[30:31], v[30:31], v[32:33], v[30:31]
	v_div_scale_f64 v[32:33], vcc, v[2:3], v[50:51], v[2:3]
	v_mul_f64 v[34:35], v[32:33], v[30:31]
	v_fma_f64 v[16:17], -v[16:17], v[34:35], v[32:33]
	s_nop 1
	v_div_fmas_f64 v[16:17], v[16:17], v[30:31], v[34:35]
	v_div_fixup_f64 v[2:3], v[16:17], v[50:51], v[2:3]
	v_fma_f64 v[2:3], v[50:51], v[41:42], v[2:3]
	v_add_f64 v[2:3], v[2:3], s[28:29]
	s_mov_b32 s29, 0xbffc8d48
	s_mov_b32 s28, 0x44af141d
	v_add_f64 v[16:17], v[50:51], s[28:29]
	s_mov_b32 s29, 0x3ffc8d48
	v_div_scale_f64 v[30:31], s[40:41], v[16:17], v[16:17], s[28:29]
	v_rcp_f64_e32 v[32:33], v[30:31]
	v_fma_f64 v[34:35], -v[30:31], v[32:33], 1.0
	v_fma_f64 v[32:33], v[32:33], v[34:35], v[32:33]
	v_fma_f64 v[34:35], -v[30:31], v[32:33], 1.0
	v_fma_f64 v[32:33], v[32:33], v[34:35], v[32:33]
	v_div_scale_f64 v[34:35], vcc, s[28:29], v[16:17], s[28:29]
	v_mul_f64 v[36:37], v[34:35], v[32:33]
	v_fma_f64 v[30:31], -v[30:31], v[36:37], v[34:35]
	s_nop 1
	v_div_fmas_f64 v[30:31], v[30:31], v[32:33], v[36:37]
	v_div_fixup_f64 v[16:17], v[30:31], v[16:17], s[28:29]
	s_mov_b32 s28, 0x1cf896df
	s_mov_b32 s29, 0x3f186d95
	v_fma_f64 v[58:59], v[2:3], v[46:47], v[16:17]
	v_mov_b32_e32 v2, 0xb3b37cd8
	v_mov_b32_e32 v3, 0xbf9d644d
	v_fma_f64 v[2:3], v[50:51], s[28:29], v[2:3]
	s_mov_b32 s28, 0x58db5abf
	s_mov_b32 s29, 0xbfe91276
	v_fma_f64 v[2:3], v[50:51], v[2:3], s[28:29]
	s_mov_b32 s28, 0x6458880d
	s_mov_b32 s29, 0xc0326f13
	;; [unrolled: 3-line block ×4, first 2 shown]
	v_div_scale_f64 v[2:3], s[40:41], v[50:51], v[50:51], s[28:29]
	v_rcp_f64_e32 v[16:17], v[2:3]
	v_fma_f64 v[30:31], -v[2:3], v[16:17], 1.0
	v_fma_f64 v[16:17], v[16:17], v[30:31], v[16:17]
	v_fma_f64 v[30:31], -v[2:3], v[16:17], 1.0
	v_fma_f64 v[16:17], v[16:17], v[30:31], v[16:17]
	v_div_scale_f64 v[30:31], vcc, s[28:29], v[50:51], s[28:29]
	v_mul_f64 v[32:33], v[30:31], v[16:17]
	v_fma_f64 v[2:3], -v[2:3], v[32:33], v[30:31]
	s_nop 1
	v_div_fmas_f64 v[2:3], v[2:3], v[16:17], v[32:33]
	v_div_fixup_f64 v[2:3], v[2:3], v[50:51], s[28:29]
	s_mov_b32 s28, 0xd9c89bfe
	s_mov_b32 s29, 0x40e8f9ba
	v_add_f64 v[44:45], v[2:3], s[28:29]
	v_div_scale_f64 v[2:3], s[28:29], v[50:51], v[50:51], v[44:45]
	s_mov_b32 s28, 0x4dc4ad02
	s_mov_b32 s29, 0xc0bae175
	v_rcp_f64_e32 v[16:17], v[2:3]
	v_fma_f64 v[30:31], -v[2:3], v[16:17], 1.0
	v_fma_f64 v[16:17], v[16:17], v[30:31], v[16:17]
	v_fma_f64 v[30:31], -v[2:3], v[16:17], 1.0
	v_fma_f64 v[16:17], v[16:17], v[30:31], v[16:17]
	v_div_scale_f64 v[30:31], vcc, v[44:45], v[50:51], v[44:45]
	v_mul_f64 v[32:33], v[30:31], v[16:17]
	v_fma_f64 v[2:3], -v[2:3], v[32:33], v[30:31]
	s_nop 1
	v_div_fmas_f64 v[2:3], v[2:3], v[16:17], v[32:33]
	v_div_fixup_f64 v[2:3], v[2:3], v[50:51], v[44:45]
	v_fma_f64 v[2:3], v[50:51], v[41:42], v[2:3]
	v_add_f64 v[41:42], v[2:3], s[28:29]
.LBB0_119:
	s_or_b64 exec, exec, s[26:27]
	v_fma_f64 v[2:3], v[0:1], 2.0, v[0:1]
	v_add_f64 v[2:3], v[2:3], -v[46:47]
	v_div_scale_f64 v[16:17], s[26:27], v[38:39], v[38:39], v[2:3]
	s_mov_b32 s27, 0xc01619f3
	s_mov_b32 s26, 0xb5c0b740
	v_rcp_f64_e32 v[30:31], v[16:17]
	v_fma_f64 v[32:33], -v[16:17], v[30:31], 1.0
	v_fma_f64 v[30:31], v[30:31], v[32:33], v[30:31]
	v_fma_f64 v[32:33], -v[16:17], v[30:31], 1.0
	v_fma_f64 v[30:31], v[30:31], v[32:33], v[30:31]
	v_div_scale_f64 v[32:33], vcc, v[2:3], v[38:39], v[2:3]
	v_mul_f64 v[34:35], v[32:33], v[30:31]
	v_fma_f64 v[16:17], -v[16:17], v[34:35], v[32:33]
	s_nop 1
	v_div_fmas_f64 v[16:17], v[16:17], v[30:31], v[34:35]
	v_div_fixup_f64 v[44:45], v[16:17], v[38:39], v[2:3]
	v_add_f64 v[2:3], v[50:51], s[26:27]
	s_mov_b32 s27, 0x401619f3
	v_div_scale_f64 v[16:17], s[28:29], v[2:3], v[2:3], s[26:27]
	v_rcp_f64_e32 v[30:31], v[16:17]
	v_fma_f64 v[32:33], -v[16:17], v[30:31], 1.0
	v_fma_f64 v[30:31], v[30:31], v[32:33], v[30:31]
	v_fma_f64 v[32:33], -v[16:17], v[30:31], 1.0
	v_fma_f64 v[30:31], v[30:31], v[32:33], v[30:31]
	v_div_scale_f64 v[32:33], vcc, s[26:27], v[2:3], s[26:27]
	v_mul_f64 v[34:35], v[32:33], v[30:31]
	v_fma_f64 v[16:17], -v[16:17], v[34:35], v[32:33]
	s_nop 1
	v_div_fmas_f64 v[16:17], v[16:17], v[30:31], v[34:35]
	v_div_fixup_f64 v[2:3], v[16:17], v[2:3], s[26:27]
	v_fma_f64 v[41:42], v[46:47], v[41:42], v[2:3]
	v_add_f64 v[2:3], v[52:53], 1.0
	v_div_scale_f64 v[16:17], s[26:27], v[2:3], v[2:3], v[52:53]
	v_rcp_f64_e32 v[30:31], v[16:17]
	v_fma_f64 v[32:33], -v[16:17], v[30:31], 1.0
	v_fma_f64 v[30:31], v[30:31], v[32:33], v[30:31]
	v_fma_f64 v[32:33], -v[16:17], v[30:31], 1.0
	v_fma_f64 v[30:31], v[30:31], v[32:33], v[30:31]
	v_div_scale_f64 v[32:33], vcc, v[52:53], v[2:3], v[52:53]
	v_mul_f64 v[34:35], v[32:33], v[30:31]
	v_fma_f64 v[16:17], -v[16:17], v[34:35], v[32:33]
	s_nop 1
	v_div_fmas_f64 v[16:17], v[16:17], v[30:31], v[34:35]
	v_div_fixup_f64 v[50:51], v[16:17], v[2:3], v[52:53]
	v_add_f64 v[2:3], v[58:59], 1.0
	v_div_scale_f64 v[16:17], s[26:27], v[2:3], v[2:3], v[58:59]
	v_rcp_f64_e32 v[30:31], v[16:17]
	v_fma_f64 v[32:33], -v[16:17], v[30:31], 1.0
	v_fma_f64 v[30:31], v[30:31], v[32:33], v[30:31]
	v_fma_f64 v[32:33], -v[16:17], v[30:31], 1.0
	v_fma_f64 v[30:31], v[30:31], v[32:33], v[30:31]
	v_div_scale_f64 v[32:33], vcc, v[58:59], v[2:3], v[58:59]
	v_mul_f64 v[34:35], v[32:33], v[30:31]
	v_fma_f64 v[16:17], -v[16:17], v[34:35], v[32:33]
	s_nop 1
	v_div_fmas_f64 v[16:17], v[16:17], v[30:31], v[34:35]
	v_div_fixup_f64 v[46:47], v[16:17], v[2:3], v[58:59]
	v_add_f64 v[2:3], v[41:42], 1.0
	v_div_scale_f64 v[16:17], s[26:27], v[2:3], v[2:3], v[41:42]
	v_rcp_f64_e32 v[30:31], v[16:17]
	v_fma_f64 v[32:33], -v[16:17], v[30:31], 1.0
	v_fma_f64 v[30:31], v[30:31], v[32:33], v[30:31]
	v_fma_f64 v[32:33], -v[16:17], v[30:31], 1.0
	v_fma_f64 v[30:31], v[30:31], v[32:33], v[30:31]
	v_div_scale_f64 v[32:33], vcc, v[41:42], v[2:3], v[41:42]
	v_mul_f64 v[34:35], v[32:33], v[30:31]
	v_fma_f64 v[16:17], -v[16:17], v[34:35], v[32:33]
	s_nop 1
	v_div_fmas_f64 v[16:17], v[16:17], v[30:31], v[34:35]
	v_fma_f64 v[30:31], -v[54:55], v[50:51], v[0:1]
	v_div_fixup_f64 v[2:3], v[16:17], v[2:3], v[41:42]
	v_fma_f64 v[16:17], -v[0:1], v[50:51], v[44:45]
	v_add_f64 v[34:35], v[2:3], -v[46:47]
	v_add_f64 v[36:37], v[2:3], -v[50:51]
	v_fma_f64 v[32:33], -v[46:47], v[30:31], v[16:17]
	v_fma_f64 v[2:3], v[2:3], v[30:31], -v[16:17]
	v_add_f64 v[16:17], v[46:47], -v[50:51]
	v_mul_f64 v[36:37], v[34:35], v[36:37]
	v_mul_f64 v[16:17], v[16:17], v[34:35]
	v_div_scale_f64 v[38:39], s[26:27], v[36:37], v[36:37], v[32:33]
	v_div_scale_f64 v[30:31], s[26:27], v[16:17], v[16:17], v[2:3]
	v_rcp_f64_e32 v[48:49], v[38:39]
	v_fma_f64 v[43:44], -v[38:39], v[48:49], 1.0
	v_fma_f64 v[48:49], v[48:49], v[43:44], v[48:49]
	v_fma_f64 v[43:44], -v[38:39], v[48:49], 1.0
	v_fma_f64 v[48:49], v[48:49], v[43:44], v[48:49]
	v_div_scale_f64 v[43:44], vcc, v[32:33], v[36:37], v[32:33]
	v_mul_f64 v[56:57], v[43:44], v[48:49]
	v_fma_f64 v[38:39], -v[38:39], v[56:57], v[43:44]
	s_nop 1
	v_div_fmas_f64 v[38:39], v[38:39], v[48:49], v[56:57]
	v_div_fixup_f64 v[44:45], v[38:39], v[36:37], v[32:33]
	v_rcp_f64_e32 v[32:33], v[30:31]
	v_fma_f64 v[34:35], -v[30:31], v[32:33], 1.0
	v_fma_f64 v[32:33], v[32:33], v[34:35], v[32:33]
	v_fma_f64 v[34:35], -v[30:31], v[32:33], 1.0
	v_fma_f64 v[32:33], v[32:33], v[34:35], v[32:33]
	v_div_scale_f64 v[34:35], vcc, v[2:3], v[16:17], v[2:3]
	v_mul_f64 v[36:37], v[34:35], v[32:33]
	v_fma_f64 v[30:31], -v[30:31], v[36:37], v[34:35]
	s_nop 1
	v_div_fmas_f64 v[30:31], v[30:31], v[32:33], v[36:37]
	v_div_fixup_f64 v[56:57], v[30:31], v[16:17], v[2:3]
	v_add_f64 v[2:3], v[54:55], -v[56:57]
	v_add_f64 v[54:55], v[2:3], -v[44:45]
.LBB0_120:
	s_or_b64 exec, exec, s[24:25]
                                        ; implicit-def: $vgpr50_vgpr51
                                        ; implicit-def: $vgpr46_vgpr47
                                        ; implicit-def: $vgpr0_vgpr1
.LBB0_121:
	s_andn2_saveexec_b64 s[22:23], s[22:23]
	s_cbranch_execz .LBB0_123
; %bb.122:
	s_mov_b32 s24, 0x2e1a6850
	v_mov_b32_e32 v2, 0xc7014c2f
	v_mov_b32_e32 v3, 0x3f2711b1
	s_mov_b32 s25, 0xbeb34731
	v_fma_f64 v[2:3], v[50:51], s[24:25], v[2:3]
	s_mov_b32 s24, 0x3ecbb5b5
	s_mov_b32 s25, 0xbf919c75
	v_mov_b32_e32 v44, 0
	v_mov_b32_e32 v45, 0
	v_fma_f64 v[2:3], v[50:51], v[2:3], s[24:25]
	s_mov_b32 s24, 0x2c4d6e04
	s_mov_b32 s25, 0xbfc192ce
	v_fma_f64 v[2:3], v[50:51], v[2:3], s[24:25]
	s_mov_b32 s24, 0x98a19a3b
	s_mov_b32 s25, 0xc047c97f
	v_div_scale_f64 v[16:17], s[26:27], v[50:51], v[50:51], s[24:25]
	v_rcp_f64_e32 v[30:31], v[16:17]
	v_fma_f64 v[32:33], -v[16:17], v[30:31], 1.0
	v_fma_f64 v[30:31], v[30:31], v[32:33], v[30:31]
	v_fma_f64 v[32:33], -v[16:17], v[30:31], 1.0
	v_fma_f64 v[30:31], v[30:31], v[32:33], v[30:31]
	v_div_scale_f64 v[32:33], vcc, s[24:25], v[50:51], s[24:25]
	v_mul_f64 v[34:35], v[32:33], v[30:31]
	v_fma_f64 v[16:17], -v[16:17], v[34:35], v[32:33]
	s_nop 1
	v_div_fmas_f64 v[16:17], v[16:17], v[30:31], v[34:35]
	v_div_fixup_f64 v[16:17], v[16:17], v[50:51], s[24:25]
	s_mov_b32 s24, 0xeb08f581
	s_mov_b32 s25, 0x40226b8b
	v_add_f64 v[16:17], v[16:17], s[24:25]
	v_div_scale_f64 v[30:31], s[24:25], v[50:51], v[50:51], v[16:17]
	s_mov_b32 s24, 0x7e7368c2
	s_mov_b32 s25, 0xbf97a9a5
	v_rcp_f64_e32 v[32:33], v[30:31]
	v_fma_f64 v[34:35], -v[30:31], v[32:33], 1.0
	v_fma_f64 v[32:33], v[32:33], v[34:35], v[32:33]
	v_fma_f64 v[34:35], -v[30:31], v[32:33], 1.0
	v_fma_f64 v[32:33], v[32:33], v[34:35], v[32:33]
	v_div_scale_f64 v[34:35], vcc, v[16:17], v[50:51], v[16:17]
	v_mul_f64 v[36:37], v[34:35], v[32:33]
	v_fma_f64 v[30:31], -v[30:31], v[36:37], v[34:35]
	s_nop 1
	v_div_fmas_f64 v[30:31], v[30:31], v[32:33], v[36:37]
	v_div_fixup_f64 v[16:17], v[30:31], v[50:51], v[16:17]
	v_fma_f64 v[2:3], v[50:51], v[2:3], v[16:17]
	v_add_f64 v[2:3], v[2:3], s[24:25]
	s_mov_b32 s25, 0xbfd19dc7
	s_mov_b32 s24, 0xafdb7b47
	v_add_f64 v[16:17], v[50:51], s[24:25]
	s_mov_b32 s25, 0x3fd19dc7
	v_div_scale_f64 v[30:31], s[26:27], v[16:17], v[16:17], s[24:25]
	v_rcp_f64_e32 v[32:33], v[30:31]
	v_fma_f64 v[34:35], -v[30:31], v[32:33], 1.0
	v_fma_f64 v[32:33], v[32:33], v[34:35], v[32:33]
	v_fma_f64 v[34:35], -v[30:31], v[32:33], 1.0
	v_fma_f64 v[32:33], v[32:33], v[34:35], v[32:33]
	v_div_scale_f64 v[34:35], vcc, s[24:25], v[16:17], s[24:25]
	v_mul_f64 v[36:37], v[34:35], v[32:33]
	v_fma_f64 v[30:31], -v[30:31], v[36:37], v[34:35]
	s_nop 1
	v_div_fmas_f64 v[30:31], v[30:31], v[32:33], v[36:37]
	v_div_fixup_f64 v[16:17], v[30:31], v[16:17], s[24:25]
	s_mov_b32 s24, 0x7b27a661
	s_mov_b32 s25, 0x3f37ea5e
	v_fma_f64 v[52:53], v[2:3], v[46:47], v[16:17]
	v_mov_b32_e32 v2, 0x5eeb529d
	v_mov_b32_e32 v3, 0xbfb8e11f
	v_fma_f64 v[2:3], v[50:51], s[24:25], v[2:3]
	s_mov_b32 s24, 0xef27b1df
	s_mov_b32 s25, 0xc0101d8d
	v_fma_f64 v[41:42], v[50:51], v[2:3], s[24:25]
	s_mov_b32 s24, 0x91cc54ee
	s_mov_b32 s25, 0xc060fa97
	v_div_scale_f64 v[2:3], s[26:27], v[50:51], v[50:51], s[24:25]
	v_rcp_f64_e32 v[16:17], v[2:3]
	v_fma_f64 v[30:31], -v[2:3], v[16:17], 1.0
	v_fma_f64 v[16:17], v[16:17], v[30:31], v[16:17]
	v_fma_f64 v[30:31], -v[2:3], v[16:17], 1.0
	v_fma_f64 v[16:17], v[16:17], v[30:31], v[16:17]
	v_div_scale_f64 v[30:31], vcc, s[24:25], v[50:51], s[24:25]
	v_mul_f64 v[32:33], v[30:31], v[16:17]
	v_fma_f64 v[2:3], -v[2:3], v[32:33], v[30:31]
	s_nop 1
	v_div_fmas_f64 v[2:3], v[2:3], v[16:17], v[32:33]
	v_div_fixup_f64 v[2:3], v[2:3], v[50:51], s[24:25]
	s_mov_b32 s24, 0x66acbf03
	s_mov_b32 s25, 0xc055ac1b
	v_add_f64 v[2:3], v[2:3], s[24:25]
	v_div_scale_f64 v[16:17], s[24:25], v[50:51], v[50:51], v[2:3]
	s_mov_b32 s24, 0x5e33dc4b
	s_mov_b32 s25, 0x4007d745
	v_rcp_f64_e32 v[30:31], v[16:17]
	v_fma_f64 v[32:33], -v[16:17], v[30:31], 1.0
	v_fma_f64 v[30:31], v[30:31], v[32:33], v[30:31]
	v_fma_f64 v[32:33], -v[16:17], v[30:31], 1.0
	v_fma_f64 v[30:31], v[30:31], v[32:33], v[30:31]
	v_div_scale_f64 v[32:33], vcc, v[2:3], v[50:51], v[2:3]
	v_mul_f64 v[34:35], v[32:33], v[30:31]
	v_fma_f64 v[16:17], -v[16:17], v[34:35], v[32:33]
	s_nop 1
	v_div_fmas_f64 v[16:17], v[16:17], v[30:31], v[34:35]
	v_div_fixup_f64 v[2:3], v[16:17], v[50:51], v[2:3]
	v_fma_f64 v[2:3], v[50:51], v[41:42], v[2:3]
	v_add_f64 v[41:42], v[2:3], s[24:25]
	s_mov_b32 s25, 0xc005cc47
	s_mov_b32 s24, 0xa049083
	v_add_f64 v[50:51], v[50:51], s[24:25]
	s_mov_b32 s25, 0x4005cc47
	v_div_scale_f64 v[2:3], s[26:27], v[50:51], v[50:51], s[24:25]
	v_rcp_f64_e32 v[16:17], v[2:3]
	v_fma_f64 v[30:31], -v[2:3], v[16:17], 1.0
	v_fma_f64 v[16:17], v[16:17], v[30:31], v[16:17]
	v_fma_f64 v[30:31], -v[2:3], v[16:17], 1.0
	v_fma_f64 v[16:17], v[16:17], v[30:31], v[16:17]
	v_div_scale_f64 v[30:31], vcc, s[24:25], v[50:51], s[24:25]
	v_mul_f64 v[32:33], v[30:31], v[16:17]
	v_fma_f64 v[2:3], -v[2:3], v[32:33], v[30:31]
	s_nop 1
	v_div_fmas_f64 v[2:3], v[2:3], v[16:17], v[32:33]
	v_div_fixup_f64 v[2:3], v[2:3], v[50:51], s[24:25]
	v_fma_f64 v[58:59], v[41:42], v[46:47], v[2:3]
	v_add_f64 v[2:3], v[0:1], -v[54:55]
	v_mov_b32_e32 v41, 0
	v_mov_b32_e32 v42, 0
	v_add_f64 v[16:17], v[58:59], 1.0
	v_fma_f64 v[2:3], v[52:53], v[2:3], v[0:1]
	v_mul_f64 v[2:3], v[16:17], v[2:3]
	v_add_f64 v[16:17], v[58:59], -v[52:53]
	v_div_scale_f64 v[30:31], s[24:25], v[16:17], v[16:17], v[2:3]
	v_rcp_f64_e32 v[32:33], v[30:31]
	v_fma_f64 v[34:35], -v[30:31], v[32:33], 1.0
	v_fma_f64 v[32:33], v[32:33], v[34:35], v[32:33]
	v_fma_f64 v[34:35], -v[30:31], v[32:33], 1.0
	v_fma_f64 v[32:33], v[32:33], v[34:35], v[32:33]
	v_div_scale_f64 v[34:35], vcc, v[2:3], v[16:17], v[2:3]
	v_mul_f64 v[36:37], v[34:35], v[32:33]
	v_fma_f64 v[30:31], -v[30:31], v[36:37], v[34:35]
	s_nop 1
	v_div_fmas_f64 v[30:31], v[30:31], v[32:33], v[36:37]
	v_div_fixup_f64 v[56:57], v[30:31], v[16:17], v[2:3]
	v_add_f64 v[54:55], v[54:55], -v[56:57]
.LBB0_123:
	s_or_b64 exec, exec, s[22:23]
                                        ; implicit-def: $vgpr0_vgpr1
.LBB0_124:
	s_andn2_saveexec_b64 s[20:21], s[20:21]
	s_cbranch_execz .LBB0_128
; %bb.125:
	buffer_load_dword v2, off, s[0:3], s33 offset:828 ; 4-byte Folded Reload
	v_mov_b32_e32 v44, 0
	v_mov_b32_e32 v52, 0
	;; [unrolled: 1-line block ×4, first 2 shown]
	s_waitcnt vmcnt(0)
	v_cmp_eq_u32_e32 vcc, 0, v2
	s_and_saveexec_b64 s[22:23], vcc
	s_cbranch_execz .LBB0_127
; %bb.126:
	v_add_f64 v[2:3], v[54:55], -v[0:1]
	v_div_scale_f64 v[16:17], s[24:25], v[2:3], v[2:3], v[0:1]
	v_div_scale_f64 v[34:35], vcc, v[0:1], v[2:3], v[0:1]
	v_rcp_f64_e32 v[30:31], v[16:17]
	v_fma_f64 v[32:33], -v[16:17], v[30:31], 1.0
	v_fma_f64 v[30:31], v[30:31], v[32:33], v[30:31]
	v_fma_f64 v[32:33], -v[16:17], v[30:31], 1.0
	v_fma_f64 v[30:31], v[30:31], v[32:33], v[30:31]
	v_mul_f64 v[32:33], v[34:35], v[30:31]
	v_fma_f64 v[16:17], -v[16:17], v[32:33], v[34:35]
	v_div_fmas_f64 v[16:17], v[16:17], v[30:31], v[32:33]
	v_div_fixup_f64 v[52:53], v[16:17], v[2:3], v[0:1]
.LBB0_127:
	s_or_b64 exec, exec, s[22:23]
	v_mov_b32_e32 v56, 0
	v_mov_b32_e32 v41, 0
	;; [unrolled: 1-line block ×6, first 2 shown]
.LBB0_128:
	s_or_b64 exec, exec, s[20:21]
.LBB0_129:
	s_or_b64 exec, exec, s[18:19]
                                        ; implicit-def: $vgpr50_vgpr51
.LBB0_130:
	s_andn2_saveexec_b64 s[16:17], s[16:17]
	s_cbranch_execz .LBB0_144
; %bb.131:
	s_mov_b32 s18, 0x652b82fe
	s_mov_b32 s19, 0xbff71547
	v_mul_f64 v[2:3], v[50:51], s[18:19]
	s_mov_b32 s18, 0xfefa39ef
	s_mov_b32 s19, 0xbfe62e42
	v_mov_b32_e32 v30, 0xfca7ab0c
	v_mov_b32_e32 v31, 0x3e928af3
	;; [unrolled: 1-line block ×3, first 2 shown]
                                        ; implicit-def: $vgpr44_vgpr45
                                        ; implicit-def: $vgpr56_vgpr57
                                        ; implicit-def: $vgpr41_vgpr42
                                        ; implicit-def: $vgpr58_vgpr59
	v_rndne_f64_e32 v[2:3], v[2:3]
	v_fma_f64 v[16:17], v[2:3], s[18:19], -v[50:51]
	s_mov_b32 s18, 0x3b39803f
	s_mov_b32 s19, 0xbc7abc9e
	v_fma_f64 v[16:17], v[2:3], s[18:19], v[16:17]
	s_mov_b32 s18, 0x6a5dcb37
	s_mov_b32 s19, 0x3e5ade15
	v_cvt_i32_f64_e32 v2, v[2:3]
	v_fma_f64 v[30:31], v[16:17], s[18:19], v[30:31]
	s_mov_b32 s18, 0x623fde64
	s_mov_b32 s19, 0x3ec71dee
	v_fma_f64 v[30:31], v[16:17], v[30:31], s[18:19]
	s_mov_b32 s18, 0x7c89e6b0
	s_mov_b32 s19, 0x3efa0199
	;; [unrolled: 3-line block ×9, first 2 shown]
	v_fma_f64 v[30:31], v[16:17], v[30:31], 1.0
	v_fma_f64 v[16:17], v[16:17], v[30:31], 1.0
	s_waitcnt vmcnt(1)
	v_ldexp_f64 v[46:47], v[16:17], v2
	v_div_scale_f64 v[2:3], s[20:21], v[50:51], v[50:51], s[18:19]
	v_rcp_f64_e32 v[16:17], v[2:3]
	v_fma_f64 v[30:31], -v[2:3], v[16:17], 1.0
	v_fma_f64 v[16:17], v[16:17], v[30:31], v[16:17]
	v_fma_f64 v[30:31], -v[2:3], v[16:17], 1.0
	v_fma_f64 v[16:17], v[16:17], v[30:31], v[16:17]
	v_div_scale_f64 v[30:31], vcc, s[18:19], v[50:51], s[18:19]
	v_mul_f64 v[32:33], v[30:31], v[16:17]
	v_fma_f64 v[2:3], -v[2:3], v[32:33], v[30:31]
	s_nop 1
	v_div_fmas_f64 v[2:3], v[2:3], v[16:17], v[32:33]
	v_div_fixup_f64 v[2:3], v[2:3], v[50:51], s[18:19]
	s_mov_b32 s18, 0x1930dd58
	s_mov_b32 s19, 0x3fcd6df8
	v_add_f64 v[2:3], v[2:3], s[18:19]
	v_div_scale_f64 v[16:17], s[18:19], v[50:51], v[50:51], v[2:3]
	s_mov_b32 s18, 0xa84e6e89
	s_mov_b32 s19, 0xbfdfee97
	v_rcp_f64_e32 v[30:31], v[16:17]
	v_fma_f64 v[32:33], -v[16:17], v[30:31], 1.0
	v_fma_f64 v[30:31], v[30:31], v[32:33], v[30:31]
	v_fma_f64 v[32:33], -v[16:17], v[30:31], 1.0
	v_fma_f64 v[30:31], v[30:31], v[32:33], v[30:31]
	v_div_scale_f64 v[32:33], vcc, v[2:3], v[50:51], v[2:3]
	v_mul_f64 v[34:35], v[32:33], v[30:31]
	v_fma_f64 v[16:17], -v[16:17], v[34:35], v[32:33]
	s_nop 1
	v_div_fmas_f64 v[16:17], v[16:17], v[30:31], v[34:35]
	v_div_fixup_f64 v[2:3], v[16:17], v[50:51], v[2:3]
	v_add_f64 v[2:3], v[2:3], s[18:19]
	v_div_scale_f64 v[16:17], s[18:19], v[50:51], v[50:51], v[2:3]
	s_mov_b32 s18, 0x3edd2a8f
	s_mov_b32 s19, 0xbef6fb2b
	v_rcp_f64_e32 v[30:31], v[16:17]
	v_fma_f64 v[32:33], -v[16:17], v[30:31], 1.0
	v_fma_f64 v[30:31], v[30:31], v[32:33], v[30:31]
	v_fma_f64 v[32:33], -v[16:17], v[30:31], 1.0
	v_fma_f64 v[30:31], v[30:31], v[32:33], v[30:31]
	v_div_scale_f64 v[32:33], vcc, v[2:3], v[50:51], v[2:3]
	v_mul_f64 v[34:35], v[32:33], v[30:31]
	v_fma_f64 v[16:17], -v[16:17], v[34:35], v[32:33]
	s_nop 1
	v_div_fmas_f64 v[16:17], v[16:17], v[30:31], v[34:35]
	v_div_fixup_f64 v[2:3], v[16:17], v[50:51], v[2:3]
	v_add_f64 v[52:53], v[2:3], s[18:19]
	s_mov_b32 s18, 0x54442d15
	s_mov_b32 s19, 0x3fe921fb
	v_div_scale_f64 v[2:3], s[20:21], v[50:51], v[50:51], s[18:19]
	v_rcp_f64_e32 v[16:17], v[2:3]
	v_fma_f64 v[30:31], -v[2:3], v[16:17], 1.0
	v_fma_f64 v[16:17], v[16:17], v[30:31], v[16:17]
	v_fma_f64 v[30:31], -v[2:3], v[16:17], 1.0
	v_fma_f64 v[16:17], v[16:17], v[30:31], v[16:17]
	v_div_scale_f64 v[30:31], vcc, s[18:19], v[50:51], s[18:19]
	v_mul_f64 v[32:33], v[30:31], v[16:17]
	v_fma_f64 v[2:3], -v[2:3], v[32:33], v[30:31]
	s_nop 1
	v_div_fmas_f64 v[2:3], v[2:3], v[16:17], v[32:33]
	v_div_fixup_f64 v[2:3], v[2:3], v[50:51], s[18:19]
	s_mov_b32 s18, 0
	s_brev_b32 s19, 8
	v_cmp_gt_f64_e32 vcc, s[18:19], v[2:3]
	v_cndmask_b32_e32 v11, 0, v11, vcc
	v_ldexp_f64 v[48:49], v[2:3], v11
	v_mov_b32_e32 v11, 0xffffff80
	v_cndmask_b32_e32 v11, 0, v11, vcc
	v_rsq_f64_e32 v[2:3], v[48:49]
	v_mul_f64 v[16:17], v[48:49], v[2:3]
	v_mul_f64 v[2:3], v[2:3], 0.5
	v_fma_f64 v[30:31], -v[2:3], v[16:17], 0.5
	v_fma_f64 v[16:17], v[16:17], v[30:31], v[16:17]
	v_fma_f64 v[2:3], v[2:3], v[30:31], v[2:3]
	v_fma_f64 v[32:33], -v[16:17], v[16:17], v[48:49]
	v_fma_f64 v[16:17], v[32:33], v[2:3], v[16:17]
	v_fma_f64 v[30:31], -v[16:17], v[16:17], v[48:49]
	v_fma_f64 v[2:3], v[30:31], v[2:3], v[16:17]
	v_ldexp_f64 v[2:3], v[2:3], v11
	v_mov_b32_e32 v11, 0x260
	v_cmp_class_f64_e32 vcc, v[48:49], v11
	v_cndmask_b32_e32 v3, v3, v49, vcc
	v_cndmask_b32_e32 v2, v2, v48, vcc
	v_fma_f64 v[54:55], v[52:53], v[46:47], v[2:3]
	v_add_f64 v[48:49], v[50:51], v[50:51]
                                        ; implicit-def: $vgpr52_vgpr53
	v_add_f64 v[2:3], v[54:55], -v[46:47]
	v_div_scale_f64 v[16:17], s[18:19], v[48:49], v[48:49], v[2:3]
	v_rcp_f64_e32 v[30:31], v[16:17]
	v_fma_f64 v[32:33], -v[16:17], v[30:31], 1.0
	v_fma_f64 v[30:31], v[30:31], v[32:33], v[30:31]
	v_fma_f64 v[32:33], -v[16:17], v[30:31], 1.0
	v_fma_f64 v[30:31], v[30:31], v[32:33], v[30:31]
	v_div_scale_f64 v[32:33], vcc, v[2:3], v[48:49], v[2:3]
	v_mul_f64 v[34:35], v[32:33], v[30:31]
	v_fma_f64 v[16:17], -v[16:17], v[34:35], v[32:33]
	s_nop 1
	v_div_fmas_f64 v[16:17], v[16:17], v[30:31], v[34:35]
	v_div_fixup_f64 v[0:1], v[16:17], v[48:49], v[2:3]
	buffer_load_dword v2, off, s[0:3], s33 offset:828 ; 4-byte Folded Reload
	s_waitcnt vmcnt(0)
	v_cmp_lt_i32_e32 vcc, 0, v2
	s_and_saveexec_b64 s[18:19], vcc
	s_xor_b64 s[18:19], exec, s[18:19]
	s_cbranch_execz .LBB0_139
; %bb.132:
	buffer_load_dword v2, off, s[0:3], s33 offset:828 ; 4-byte Folded Reload
                                        ; implicit-def: $vgpr44_vgpr45
                                        ; implicit-def: $vgpr56_vgpr57
                                        ; implicit-def: $vgpr41_vgpr42
                                        ; implicit-def: $vgpr58_vgpr59
                                        ; implicit-def: $vgpr52_vgpr53
	s_waitcnt vmcnt(0)
	v_cmp_lt_i32_e32 vcc, 1, v2
	s_and_saveexec_b64 s[20:21], vcc
	s_xor_b64 s[20:21], exec, s[20:21]
	s_cbranch_execz .LBB0_136
; %bb.133:
	buffer_load_dword v2, off, s[0:3], s33 offset:828 ; 4-byte Folded Reload
	v_mov_b32_e32 v44, 0
	v_mov_b32_e32 v56, 0
	;; [unrolled: 1-line block ×10, first 2 shown]
	s_waitcnt vmcnt(0)
	v_cmp_eq_u32_e32 vcc, 2, v2
	s_and_saveexec_b64 s[22:23], vcc
	s_cbranch_execz .LBB0_135
; %bb.134:
	v_fma_f64 v[2:3], v[0:1], 2.0, v[0:1]
	v_add_f64 v[2:3], v[2:3], -v[46:47]
	v_div_scale_f64 v[16:17], s[24:25], v[48:49], v[48:49], v[2:3]
	s_mov_b32 s24, 0
	s_mov_b32 s25, 0xc0290000
	v_add_f64 v[50:51], v[50:51], s[24:25]
	s_mov_b32 s24, 0x10f47019
	s_mov_b32 s25, 0x3cbfdbea
	v_rcp_f64_e32 v[30:31], v[16:17]
	v_fma_f64 v[32:33], -v[16:17], v[30:31], 1.0
	v_fma_f64 v[30:31], v[30:31], v[32:33], v[30:31]
	v_fma_f64 v[32:33], -v[16:17], v[30:31], 1.0
	v_fma_f64 v[30:31], v[30:31], v[32:33], v[30:31]
	v_div_scale_f64 v[32:33], vcc, v[2:3], v[48:49], v[2:3]
	v_mul_f64 v[34:35], v[32:33], v[30:31]
	v_fma_f64 v[16:17], -v[16:17], v[34:35], v[32:33]
	s_nop 1
	v_div_fmas_f64 v[16:17], v[16:17], v[30:31], v[34:35]
	v_div_fixup_f64 v[44:45], v[16:17], v[48:49], v[2:3]
	v_mov_b32_e32 v2, 0x94ee36f9
	v_mov_b32_e32 v3, 0xbce8f78f
	v_fma_f64 v[2:3], v[50:51], s[24:25], v[2:3]
	s_mov_b32 s24, 0xae4086c1
	s_mov_b32 s25, 0xbd26fdb3
	v_fma_f64 v[2:3], v[50:51], v[2:3], s[24:25]
	s_mov_b32 s24, 0xcbe87f6
	s_mov_b32 s25, 0x3d62edc5
	;; [unrolled: 3-line block ×11, first 2 shown]
	v_fma_f64 v[52:53], v[50:51], v[2:3], s[24:25]
	s_mov_b32 s24, 0x41bbab7c
	v_mov_b32_e32 v2, 0xfef600c8
	v_mov_b32_e32 v3, 0xbd0860a0
	s_mov_b32 s25, 0x3cfedb34
	v_fma_f64 v[2:3], v[50:51], s[24:25], v[2:3]
	s_mov_b32 s24, 0xfc8f075b
	s_mov_b32 s25, 0xbd6e2f6c
	v_fma_f64 v[2:3], v[50:51], v[2:3], s[24:25]
	s_mov_b32 s24, 0x941ba9c7
	;; [unrolled: 3-line block ×12, first 2 shown]
	v_mov_b32_e32 v2, 0xd5d0b913
	v_mov_b32_e32 v3, 0xbd1ec9e9
	s_mov_b32 s25, 0x3cece10c
	v_fma_f64 v[2:3], v[50:51], s[24:25], v[2:3]
	s_mov_b32 s24, 0x3978e7de
	s_mov_b32 s25, 0xbd563763
	v_fma_f64 v[2:3], v[50:51], v[2:3], s[24:25]
	s_mov_b32 s24, 0x7793c71a
	;; [unrolled: 3-line block ×12, first 2 shown]
	s_mov_b32 s25, 0x3fe8deda
	v_fma_f64 v[41:42], v[50:51], v[2:3], s[24:25]
	v_add_f64 v[2:3], v[52:53], 1.0
	v_add_f64 v[48:49], v[41:42], 1.0
	v_div_scale_f64 v[16:17], s[24:25], v[2:3], v[2:3], v[52:53]
	v_rcp_f64_e32 v[30:31], v[16:17]
	v_fma_f64 v[32:33], -v[16:17], v[30:31], 1.0
	v_fma_f64 v[30:31], v[30:31], v[32:33], v[30:31]
	v_fma_f64 v[32:33], -v[16:17], v[30:31], 1.0
	v_fma_f64 v[30:31], v[30:31], v[32:33], v[30:31]
	v_div_scale_f64 v[32:33], vcc, v[52:53], v[2:3], v[52:53]
	v_mul_f64 v[34:35], v[32:33], v[30:31]
	v_fma_f64 v[16:17], -v[16:17], v[34:35], v[32:33]
	s_nop 1
	v_div_fmas_f64 v[16:17], v[16:17], v[30:31], v[34:35]
	v_div_fixup_f64 v[50:51], v[16:17], v[2:3], v[52:53]
	v_add_f64 v[2:3], v[58:59], 1.0
	v_div_scale_f64 v[16:17], s[24:25], v[2:3], v[2:3], v[58:59]
	v_rcp_f64_e32 v[30:31], v[16:17]
	v_fma_f64 v[32:33], -v[16:17], v[30:31], 1.0
	v_fma_f64 v[30:31], v[30:31], v[32:33], v[30:31]
	v_fma_f64 v[32:33], -v[16:17], v[30:31], 1.0
	v_fma_f64 v[30:31], v[30:31], v[32:33], v[30:31]
	v_div_scale_f64 v[32:33], vcc, v[58:59], v[2:3], v[58:59]
	v_mul_f64 v[34:35], v[32:33], v[30:31]
	v_fma_f64 v[16:17], -v[16:17], v[34:35], v[32:33]
	s_nop 1
	v_div_fmas_f64 v[16:17], v[16:17], v[30:31], v[34:35]
	v_div_fixup_f64 v[46:47], v[16:17], v[2:3], v[58:59]
	v_div_scale_f64 v[2:3], s[24:25], v[48:49], v[48:49], v[41:42]
	v_rcp_f64_e32 v[16:17], v[2:3]
	v_fma_f64 v[30:31], -v[2:3], v[16:17], 1.0
	v_fma_f64 v[16:17], v[16:17], v[30:31], v[16:17]
	v_fma_f64 v[30:31], -v[2:3], v[16:17], 1.0
	v_fma_f64 v[16:17], v[16:17], v[30:31], v[16:17]
	v_div_scale_f64 v[30:31], vcc, v[41:42], v[48:49], v[41:42]
	v_mul_f64 v[32:33], v[30:31], v[16:17]
	v_fma_f64 v[2:3], -v[2:3], v[32:33], v[30:31]
	v_fma_f64 v[30:31], -v[54:55], v[50:51], v[0:1]
	s_nop 0
	v_div_fmas_f64 v[2:3], v[2:3], v[16:17], v[32:33]
	v_fma_f64 v[16:17], -v[0:1], v[50:51], v[44:45]
	v_fma_f64 v[32:33], -v[46:47], v[30:31], v[16:17]
	v_div_fixup_f64 v[2:3], v[2:3], v[48:49], v[41:42]
	v_add_f64 v[34:35], v[2:3], -v[46:47]
	v_add_f64 v[36:37], v[2:3], -v[50:51]
	v_fma_f64 v[2:3], v[2:3], v[30:31], -v[16:17]
	v_add_f64 v[16:17], v[46:47], -v[50:51]
	v_mul_f64 v[36:37], v[34:35], v[36:37]
	v_mul_f64 v[16:17], v[16:17], v[34:35]
	v_div_scale_f64 v[38:39], s[24:25], v[36:37], v[36:37], v[32:33]
	v_div_scale_f64 v[30:31], s[24:25], v[16:17], v[16:17], v[2:3]
	v_rcp_f64_e32 v[48:49], v[38:39]
	v_fma_f64 v[43:44], -v[38:39], v[48:49], 1.0
	v_fma_f64 v[48:49], v[48:49], v[43:44], v[48:49]
	v_fma_f64 v[43:44], -v[38:39], v[48:49], 1.0
	v_fma_f64 v[48:49], v[48:49], v[43:44], v[48:49]
	v_div_scale_f64 v[43:44], vcc, v[32:33], v[36:37], v[32:33]
	v_mul_f64 v[56:57], v[43:44], v[48:49]
	v_fma_f64 v[38:39], -v[38:39], v[56:57], v[43:44]
	s_nop 1
	v_div_fmas_f64 v[38:39], v[38:39], v[48:49], v[56:57]
	v_div_fixup_f64 v[44:45], v[38:39], v[36:37], v[32:33]
	v_rcp_f64_e32 v[32:33], v[30:31]
	v_fma_f64 v[34:35], -v[30:31], v[32:33], 1.0
	v_fma_f64 v[32:33], v[32:33], v[34:35], v[32:33]
	v_fma_f64 v[34:35], -v[30:31], v[32:33], 1.0
	v_fma_f64 v[32:33], v[32:33], v[34:35], v[32:33]
	v_div_scale_f64 v[34:35], vcc, v[2:3], v[16:17], v[2:3]
	v_mul_f64 v[36:37], v[34:35], v[32:33]
	v_fma_f64 v[30:31], -v[30:31], v[36:37], v[34:35]
	s_nop 1
	v_div_fmas_f64 v[30:31], v[30:31], v[32:33], v[36:37]
	v_div_fixup_f64 v[56:57], v[30:31], v[16:17], v[2:3]
	v_add_f64 v[2:3], v[54:55], -v[56:57]
	v_add_f64 v[54:55], v[2:3], -v[44:45]
.LBB0_135:
	s_or_b64 exec, exec, s[22:23]
                                        ; implicit-def: $vgpr50_vgpr51
                                        ; implicit-def: $vgpr46_vgpr47
                                        ; implicit-def: $vgpr0_vgpr1
.LBB0_136:
	s_andn2_saveexec_b64 s[20:21], s[20:21]
	s_cbranch_execz .LBB0_138
; %bb.137:
	s_mov_b32 s22, 0x16a4b4d6
	v_mov_b32_e32 v2, 0x864df747
	v_mov_b32_e32 v3, 0x3f53937b
	s_mov_b32 s23, 0xbee5309b
	v_fma_f64 v[2:3], v[50:51], s[22:23], v[2:3]
	s_mov_b32 s22, 0x181a5cbe
	s_mov_b32 s23, 0xbfb13f8e
	v_mov_b32_e32 v44, 0
	v_mov_b32_e32 v45, 0
	v_fma_f64 v[2:3], v[50:51], v[2:3], s[22:23]
	s_mov_b32 s22, 0x72eb3b81
	s_mov_b32 s23, 0x3ff41ce6
	v_fma_f64 v[52:53], v[50:51], v[2:3], s[22:23]
	s_mov_b32 s22, 0xfb97540
	s_mov_b32 s23, 0xc0c0c00c
	v_div_scale_f64 v[2:3], s[24:25], v[50:51], v[50:51], s[22:23]
	v_rcp_f64_e32 v[16:17], v[2:3]
	v_fma_f64 v[30:31], -v[2:3], v[16:17], 1.0
	v_fma_f64 v[16:17], v[16:17], v[30:31], v[16:17]
	v_fma_f64 v[30:31], -v[2:3], v[16:17], 1.0
	v_fma_f64 v[16:17], v[16:17], v[30:31], v[16:17]
	v_div_scale_f64 v[30:31], vcc, s[22:23], v[50:51], s[22:23]
	v_mul_f64 v[32:33], v[30:31], v[16:17]
	v_fma_f64 v[2:3], -v[2:3], v[32:33], v[30:31]
	s_nop 1
	v_div_fmas_f64 v[2:3], v[2:3], v[16:17], v[32:33]
	v_div_fixup_f64 v[2:3], v[2:3], v[50:51], s[22:23]
	s_mov_b32 s22, 0x34922721
	s_mov_b32 s23, 0x40b7160f
	v_add_f64 v[2:3], v[2:3], s[22:23]
	v_div_scale_f64 v[16:17], s[22:23], v[50:51], v[50:51], v[2:3]
	s_mov_b32 s22, 0x9d14ec54
	s_mov_b32 s23, 0xc09ab04e
	v_rcp_f64_e32 v[30:31], v[16:17]
	v_fma_f64 v[32:33], -v[16:17], v[30:31], 1.0
	v_fma_f64 v[30:31], v[30:31], v[32:33], v[30:31]
	v_fma_f64 v[32:33], -v[16:17], v[30:31], 1.0
	v_fma_f64 v[30:31], v[30:31], v[32:33], v[30:31]
	v_div_scale_f64 v[32:33], vcc, v[2:3], v[50:51], v[2:3]
	v_mul_f64 v[34:35], v[32:33], v[30:31]
	v_fma_f64 v[16:17], -v[16:17], v[34:35], v[32:33]
	s_nop 1
	v_div_fmas_f64 v[16:17], v[16:17], v[30:31], v[34:35]
	v_div_fixup_f64 v[2:3], v[16:17], v[50:51], v[2:3]
	v_add_f64 v[2:3], v[2:3], s[22:23]
	v_div_scale_f64 v[16:17], s[22:23], v[50:51], v[50:51], v[2:3]
	s_mov_b32 s22, 0x48360283
	s_mov_b32 s23, 0x40708896
	v_rcp_f64_e32 v[30:31], v[16:17]
	v_fma_f64 v[32:33], -v[16:17], v[30:31], 1.0
	v_fma_f64 v[30:31], v[30:31], v[32:33], v[30:31]
	v_fma_f64 v[32:33], -v[16:17], v[30:31], 1.0
	v_fma_f64 v[30:31], v[30:31], v[32:33], v[30:31]
	v_div_scale_f64 v[32:33], vcc, v[2:3], v[50:51], v[2:3]
	v_mul_f64 v[34:35], v[32:33], v[30:31]
	v_fma_f64 v[16:17], -v[16:17], v[34:35], v[32:33]
	s_nop 1
	v_div_fmas_f64 v[16:17], v[16:17], v[30:31], v[34:35]
	v_div_fixup_f64 v[2:3], v[16:17], v[50:51], v[2:3]
	v_add_f64 v[2:3], v[2:3], s[22:23]
	v_div_scale_f64 v[16:17], s[22:23], v[50:51], v[50:51], v[2:3]
	s_mov_b32 s22, 0x9b15dddc
	s_mov_b32 s23, 0xc037db67
	v_rcp_f64_e32 v[30:31], v[16:17]
	v_fma_f64 v[32:33], -v[16:17], v[30:31], 1.0
	v_fma_f64 v[30:31], v[30:31], v[32:33], v[30:31]
	v_fma_f64 v[32:33], -v[16:17], v[30:31], 1.0
	v_fma_f64 v[30:31], v[30:31], v[32:33], v[30:31]
	v_div_scale_f64 v[32:33], vcc, v[2:3], v[50:51], v[2:3]
	v_mul_f64 v[34:35], v[32:33], v[30:31]
	v_fma_f64 v[16:17], -v[16:17], v[34:35], v[32:33]
	s_nop 1
	v_div_fmas_f64 v[16:17], v[16:17], v[30:31], v[34:35]
	v_div_fixup_f64 v[2:3], v[16:17], v[50:51], v[2:3]
	v_fma_f64 v[2:3], v[50:51], v[52:53], v[2:3]
	v_add_f64 v[2:3], v[2:3], s[22:23]
	s_mov_b32 s23, 0xbfd19dc7
	s_mov_b32 s22, 0xafdb7b47
	v_add_f64 v[16:17], v[50:51], s[22:23]
	s_mov_b32 s23, 0x3fd19dc7
	v_div_scale_f64 v[30:31], s[24:25], v[16:17], v[16:17], s[22:23]
	v_rcp_f64_e32 v[32:33], v[30:31]
	v_fma_f64 v[34:35], -v[30:31], v[32:33], 1.0
	v_fma_f64 v[32:33], v[32:33], v[34:35], v[32:33]
	v_fma_f64 v[34:35], -v[30:31], v[32:33], 1.0
	v_fma_f64 v[32:33], v[32:33], v[34:35], v[32:33]
	v_div_scale_f64 v[34:35], vcc, s[22:23], v[16:17], s[22:23]
	v_mul_f64 v[36:37], v[34:35], v[32:33]
	v_fma_f64 v[30:31], -v[30:31], v[36:37], v[34:35]
	s_nop 1
	v_div_fmas_f64 v[30:31], v[30:31], v[32:33], v[36:37]
	v_div_fixup_f64 v[16:17], v[30:31], v[16:17], s[22:23]
	s_mov_b32 s22, 0xf5a2d1e4
	s_mov_b32 s23, 0x3f3637e1
	v_fma_f64 v[52:53], v[2:3], v[46:47], v[16:17]
	v_mov_b32_e32 v2, 0x29a9a022
	v_mov_b32_e32 v3, 0xbfb7ef76
	v_fma_f64 v[2:3], v[50:51], s[22:23], v[2:3]
	s_mov_b32 s22, 0x2d914f9c
	s_mov_b32 s23, 0xc010e37f
	v_fma_f64 v[41:42], v[50:51], v[2:3], s[22:23]
	s_mov_b32 s22, 0x19de963f
	s_mov_b32 s23, 0xc0a04924
	v_div_scale_f64 v[2:3], s[24:25], v[50:51], v[50:51], s[22:23]
	v_rcp_f64_e32 v[16:17], v[2:3]
	v_fma_f64 v[30:31], -v[2:3], v[16:17], 1.0
	v_fma_f64 v[16:17], v[16:17], v[30:31], v[16:17]
	v_fma_f64 v[30:31], -v[2:3], v[16:17], 1.0
	v_fma_f64 v[16:17], v[16:17], v[30:31], v[16:17]
	v_div_scale_f64 v[30:31], vcc, s[22:23], v[50:51], s[22:23]
	v_mul_f64 v[32:33], v[30:31], v[16:17]
	v_fma_f64 v[2:3], -v[2:3], v[32:33], v[30:31]
	s_nop 1
	v_div_fmas_f64 v[2:3], v[2:3], v[16:17], v[32:33]
	v_div_fixup_f64 v[2:3], v[2:3], v[50:51], s[22:23]
	s_mov_b32 s22, 0x7f0e6f2c
	s_mov_b32 s23, 0xc09067f6
	v_add_f64 v[2:3], v[2:3], s[22:23]
	v_div_scale_f64 v[16:17], s[22:23], v[50:51], v[50:51], v[2:3]
	s_mov_b32 s22, 0x9eeef91a
	s_mov_b32 s23, 0x40753e43
	v_rcp_f64_e32 v[30:31], v[16:17]
	v_fma_f64 v[32:33], -v[16:17], v[30:31], 1.0
	v_fma_f64 v[30:31], v[30:31], v[32:33], v[30:31]
	v_fma_f64 v[32:33], -v[16:17], v[30:31], 1.0
	v_fma_f64 v[30:31], v[30:31], v[32:33], v[30:31]
	v_div_scale_f64 v[32:33], vcc, v[2:3], v[50:51], v[2:3]
	v_mul_f64 v[34:35], v[32:33], v[30:31]
	v_fma_f64 v[16:17], -v[16:17], v[34:35], v[32:33]
	s_nop 1
	v_div_fmas_f64 v[16:17], v[16:17], v[30:31], v[34:35]
	v_div_fixup_f64 v[2:3], v[16:17], v[50:51], v[2:3]
	v_add_f64 v[2:3], v[2:3], s[22:23]
	v_div_scale_f64 v[16:17], s[22:23], v[50:51], v[50:51], v[2:3]
	s_mov_b32 s22, 0xe25f0df2
	s_mov_b32 s23, 0xc06385e9
	v_rcp_f64_e32 v[30:31], v[16:17]
	v_fma_f64 v[32:33], -v[16:17], v[30:31], 1.0
	v_fma_f64 v[30:31], v[30:31], v[32:33], v[30:31]
	v_fma_f64 v[32:33], -v[16:17], v[30:31], 1.0
	v_fma_f64 v[30:31], v[30:31], v[32:33], v[30:31]
	v_div_scale_f64 v[32:33], vcc, v[2:3], v[50:51], v[2:3]
	v_mul_f64 v[34:35], v[32:33], v[30:31]
	v_fma_f64 v[16:17], -v[16:17], v[34:35], v[32:33]
	s_nop 1
	v_div_fmas_f64 v[16:17], v[16:17], v[30:31], v[34:35]
	v_div_fixup_f64 v[2:3], v[16:17], v[50:51], v[2:3]
	;; [unrolled: 15-line block ×3, first 2 shown]
	v_fma_f64 v[2:3], v[50:51], v[41:42], v[2:3]
	v_add_f64 v[41:42], v[2:3], s[22:23]
	s_mov_b32 s23, 0xc005cc47
	s_mov_b32 s22, 0xa049083
	v_add_f64 v[50:51], v[50:51], s[22:23]
	s_mov_b32 s23, 0x4005cc47
	v_div_scale_f64 v[2:3], s[24:25], v[50:51], v[50:51], s[22:23]
	v_rcp_f64_e32 v[16:17], v[2:3]
	v_fma_f64 v[30:31], -v[2:3], v[16:17], 1.0
	v_fma_f64 v[16:17], v[16:17], v[30:31], v[16:17]
	v_fma_f64 v[30:31], -v[2:3], v[16:17], 1.0
	v_fma_f64 v[16:17], v[16:17], v[30:31], v[16:17]
	v_div_scale_f64 v[30:31], vcc, s[22:23], v[50:51], s[22:23]
	v_mul_f64 v[32:33], v[30:31], v[16:17]
	v_fma_f64 v[2:3], -v[2:3], v[32:33], v[30:31]
	s_nop 1
	v_div_fmas_f64 v[2:3], v[2:3], v[16:17], v[32:33]
	v_div_fixup_f64 v[2:3], v[2:3], v[50:51], s[22:23]
	v_fma_f64 v[58:59], v[41:42], v[46:47], v[2:3]
	v_add_f64 v[2:3], v[0:1], -v[54:55]
	v_mov_b32_e32 v41, 0
	v_mov_b32_e32 v42, 0
	v_add_f64 v[16:17], v[58:59], 1.0
	v_fma_f64 v[2:3], v[52:53], v[2:3], v[0:1]
	v_mul_f64 v[2:3], v[16:17], v[2:3]
	v_add_f64 v[16:17], v[58:59], -v[52:53]
	v_div_scale_f64 v[30:31], s[22:23], v[16:17], v[16:17], v[2:3]
	v_rcp_f64_e32 v[32:33], v[30:31]
	v_fma_f64 v[34:35], -v[30:31], v[32:33], 1.0
	v_fma_f64 v[32:33], v[32:33], v[34:35], v[32:33]
	v_fma_f64 v[34:35], -v[30:31], v[32:33], 1.0
	v_fma_f64 v[32:33], v[32:33], v[34:35], v[32:33]
	v_div_scale_f64 v[34:35], vcc, v[2:3], v[16:17], v[2:3]
	v_mul_f64 v[36:37], v[34:35], v[32:33]
	v_fma_f64 v[30:31], -v[30:31], v[36:37], v[34:35]
	s_nop 1
	v_div_fmas_f64 v[30:31], v[30:31], v[32:33], v[36:37]
	v_div_fixup_f64 v[56:57], v[30:31], v[16:17], v[2:3]
	v_add_f64 v[54:55], v[54:55], -v[56:57]
.LBB0_138:
	s_or_b64 exec, exec, s[20:21]
                                        ; implicit-def: $vgpr0_vgpr1
.LBB0_139:
	s_andn2_saveexec_b64 s[18:19], s[18:19]
	s_cbranch_execz .LBB0_143
; %bb.140:
	buffer_load_dword v2, off, s[0:3], s33 offset:828 ; 4-byte Folded Reload
	v_mov_b32_e32 v44, 0
	v_mov_b32_e32 v52, 0
	;; [unrolled: 1-line block ×4, first 2 shown]
	s_waitcnt vmcnt(0)
	v_cmp_eq_u32_e32 vcc, 0, v2
	s_and_saveexec_b64 s[20:21], vcc
	s_cbranch_execz .LBB0_142
; %bb.141:
	v_add_f64 v[2:3], v[54:55], -v[0:1]
	v_div_scale_f64 v[16:17], s[22:23], v[2:3], v[2:3], v[0:1]
	v_div_scale_f64 v[34:35], vcc, v[0:1], v[2:3], v[0:1]
	v_rcp_f64_e32 v[30:31], v[16:17]
	v_fma_f64 v[32:33], -v[16:17], v[30:31], 1.0
	v_fma_f64 v[30:31], v[30:31], v[32:33], v[30:31]
	v_fma_f64 v[32:33], -v[16:17], v[30:31], 1.0
	v_fma_f64 v[30:31], v[30:31], v[32:33], v[30:31]
	v_mul_f64 v[32:33], v[34:35], v[30:31]
	v_fma_f64 v[16:17], -v[16:17], v[32:33], v[34:35]
	v_div_fmas_f64 v[16:17], v[16:17], v[30:31], v[32:33]
	v_div_fixup_f64 v[52:53], v[16:17], v[2:3], v[0:1]
.LBB0_142:
	s_or_b64 exec, exec, s[20:21]
	v_mov_b32_e32 v56, 0
	v_mov_b32_e32 v41, 0
	;; [unrolled: 1-line block ×6, first 2 shown]
.LBB0_143:
	s_or_b64 exec, exec, s[18:19]
.LBB0_144:
	s_or_b64 exec, exec, s[16:17]
                                        ; implicit-def: $vgpr50_vgpr51
.LBB0_145:
	s_andn2_saveexec_b64 s[14:15], s[14:15]
	s_cbranch_execz .LBB0_159
; %bb.146:
	s_mov_b32 s16, 0x652b82fe
	s_mov_b32 s17, 0xbff71547
	v_mul_f64 v[2:3], v[50:51], s[16:17]
	s_mov_b32 s16, 0xfefa39ef
	s_mov_b32 s17, 0xbfe62e42
	v_mov_b32_e32 v30, 0xfca7ab0c
	v_mov_b32_e32 v31, 0x3e928af3
	;; [unrolled: 1-line block ×3, first 2 shown]
                                        ; implicit-def: $vgpr44_vgpr45
                                        ; implicit-def: $vgpr56_vgpr57
                                        ; implicit-def: $vgpr41_vgpr42
                                        ; implicit-def: $vgpr58_vgpr59
	v_rndne_f64_e32 v[2:3], v[2:3]
	v_fma_f64 v[16:17], v[2:3], s[16:17], -v[50:51]
	s_mov_b32 s16, 0x3b39803f
	s_mov_b32 s17, 0xbc7abc9e
	v_fma_f64 v[16:17], v[2:3], s[16:17], v[16:17]
	s_mov_b32 s16, 0x6a5dcb37
	s_mov_b32 s17, 0x3e5ade15
	v_cvt_i32_f64_e32 v2, v[2:3]
	v_fma_f64 v[30:31], v[16:17], s[16:17], v[30:31]
	s_mov_b32 s16, 0x623fde64
	s_mov_b32 s17, 0x3ec71dee
	v_fma_f64 v[30:31], v[16:17], v[30:31], s[16:17]
	s_mov_b32 s16, 0x7c89e6b0
	s_mov_b32 s17, 0x3efa0199
	;; [unrolled: 3-line block ×9, first 2 shown]
	v_fma_f64 v[30:31], v[16:17], v[30:31], 1.0
	v_fma_f64 v[16:17], v[16:17], v[30:31], 1.0
	s_waitcnt vmcnt(1)
	v_ldexp_f64 v[46:47], v[16:17], v2
	v_div_scale_f64 v[2:3], s[18:19], v[50:51], v[50:51], s[16:17]
	v_rcp_f64_e32 v[16:17], v[2:3]
	v_fma_f64 v[30:31], -v[2:3], v[16:17], 1.0
	v_fma_f64 v[16:17], v[16:17], v[30:31], v[16:17]
	v_fma_f64 v[30:31], -v[2:3], v[16:17], 1.0
	v_fma_f64 v[16:17], v[16:17], v[30:31], v[16:17]
	v_div_scale_f64 v[30:31], vcc, s[16:17], v[50:51], s[16:17]
	v_mul_f64 v[32:33], v[30:31], v[16:17]
	v_fma_f64 v[2:3], -v[2:3], v[32:33], v[30:31]
	s_nop 1
	v_div_fmas_f64 v[2:3], v[2:3], v[16:17], v[32:33]
	v_div_fixup_f64 v[2:3], v[2:3], v[50:51], s[16:17]
	s_mov_b32 s16, 0x500ec265
	s_mov_b32 s17, 0xbfe662c3
	v_add_f64 v[2:3], v[2:3], s[16:17]
	v_div_scale_f64 v[16:17], s[16:17], v[50:51], v[50:51], v[2:3]
	s_mov_b32 s16, 0xe0bf7fc2
	s_mov_b32 s17, 0x3fe12e39
	v_rcp_f64_e32 v[30:31], v[16:17]
	v_fma_f64 v[32:33], -v[16:17], v[30:31], 1.0
	v_fma_f64 v[30:31], v[30:31], v[32:33], v[30:31]
	v_fma_f64 v[32:33], -v[16:17], v[30:31], 1.0
	v_fma_f64 v[30:31], v[30:31], v[32:33], v[30:31]
	v_div_scale_f64 v[32:33], vcc, v[2:3], v[50:51], v[2:3]
	v_mul_f64 v[34:35], v[32:33], v[30:31]
	v_fma_f64 v[16:17], -v[16:17], v[34:35], v[32:33]
	s_nop 1
	v_div_fmas_f64 v[16:17], v[16:17], v[30:31], v[34:35]
	v_div_fixup_f64 v[2:3], v[16:17], v[50:51], v[2:3]
	v_add_f64 v[2:3], v[2:3], s[16:17]
	v_div_scale_f64 v[16:17], s[16:17], v[50:51], v[50:51], v[2:3]
	s_mov_b32 s16, 0x4299d9ed
	s_mov_b32 s17, 0xbfd50b8e
	v_rcp_f64_e32 v[30:31], v[16:17]
	v_fma_f64 v[32:33], -v[16:17], v[30:31], 1.0
	v_fma_f64 v[30:31], v[30:31], v[32:33], v[30:31]
	v_fma_f64 v[32:33], -v[16:17], v[30:31], 1.0
	v_fma_f64 v[30:31], v[30:31], v[32:33], v[30:31]
	v_div_scale_f64 v[32:33], vcc, v[2:3], v[50:51], v[2:3]
	v_mul_f64 v[34:35], v[32:33], v[30:31]
	v_fma_f64 v[16:17], -v[16:17], v[34:35], v[32:33]
	s_nop 1
	v_div_fmas_f64 v[16:17], v[16:17], v[30:31], v[34:35]
	v_div_fixup_f64 v[2:3], v[16:17], v[50:51], v[2:3]
	;; [unrolled: 15-line block ×5, first 2 shown]
	v_add_f64 v[52:53], v[2:3], s[16:17]
	s_mov_b32 s16, 0x54442d15
	s_mov_b32 s17, 0x3fe921fb
	v_div_scale_f64 v[2:3], s[18:19], v[50:51], v[50:51], s[16:17]
	v_rcp_f64_e32 v[16:17], v[2:3]
	v_fma_f64 v[30:31], -v[2:3], v[16:17], 1.0
	v_fma_f64 v[16:17], v[16:17], v[30:31], v[16:17]
	v_fma_f64 v[30:31], -v[2:3], v[16:17], 1.0
	v_fma_f64 v[16:17], v[16:17], v[30:31], v[16:17]
	v_div_scale_f64 v[30:31], vcc, s[16:17], v[50:51], s[16:17]
	v_mul_f64 v[32:33], v[30:31], v[16:17]
	v_fma_f64 v[2:3], -v[2:3], v[32:33], v[30:31]
	s_nop 1
	v_div_fmas_f64 v[2:3], v[2:3], v[16:17], v[32:33]
	v_div_fixup_f64 v[2:3], v[2:3], v[50:51], s[16:17]
	s_mov_b32 s16, 0
	s_brev_b32 s17, 8
	v_cmp_gt_f64_e32 vcc, s[16:17], v[2:3]
	v_cndmask_b32_e32 v11, 0, v11, vcc
	v_ldexp_f64 v[48:49], v[2:3], v11
	v_mov_b32_e32 v11, 0xffffff80
	v_cndmask_b32_e32 v11, 0, v11, vcc
	v_rsq_f64_e32 v[2:3], v[48:49]
	v_mul_f64 v[16:17], v[48:49], v[2:3]
	v_mul_f64 v[2:3], v[2:3], 0.5
	v_fma_f64 v[30:31], -v[2:3], v[16:17], 0.5
	v_fma_f64 v[16:17], v[16:17], v[30:31], v[16:17]
	v_fma_f64 v[2:3], v[2:3], v[30:31], v[2:3]
	v_fma_f64 v[32:33], -v[16:17], v[16:17], v[48:49]
	v_fma_f64 v[16:17], v[32:33], v[2:3], v[16:17]
	v_fma_f64 v[30:31], -v[16:17], v[16:17], v[48:49]
	v_fma_f64 v[2:3], v[30:31], v[2:3], v[16:17]
	v_ldexp_f64 v[2:3], v[2:3], v11
	v_mov_b32_e32 v11, 0x260
	v_cmp_class_f64_e32 vcc, v[48:49], v11
	v_cndmask_b32_e32 v3, v3, v49, vcc
	v_cndmask_b32_e32 v2, v2, v48, vcc
	v_fma_f64 v[54:55], v[52:53], v[46:47], v[2:3]
	v_add_f64 v[48:49], v[50:51], v[50:51]
                                        ; implicit-def: $vgpr52_vgpr53
	v_add_f64 v[2:3], v[54:55], -v[46:47]
	v_div_scale_f64 v[16:17], s[16:17], v[48:49], v[48:49], v[2:3]
	v_rcp_f64_e32 v[30:31], v[16:17]
	v_fma_f64 v[32:33], -v[16:17], v[30:31], 1.0
	v_fma_f64 v[30:31], v[30:31], v[32:33], v[30:31]
	v_fma_f64 v[32:33], -v[16:17], v[30:31], 1.0
	v_fma_f64 v[30:31], v[30:31], v[32:33], v[30:31]
	v_div_scale_f64 v[32:33], vcc, v[2:3], v[48:49], v[2:3]
	v_mul_f64 v[34:35], v[32:33], v[30:31]
	v_fma_f64 v[16:17], -v[16:17], v[34:35], v[32:33]
	s_nop 1
	v_div_fmas_f64 v[16:17], v[16:17], v[30:31], v[34:35]
	v_div_fixup_f64 v[0:1], v[16:17], v[48:49], v[2:3]
	buffer_load_dword v2, off, s[0:3], s33 offset:828 ; 4-byte Folded Reload
	s_waitcnt vmcnt(0)
	v_cmp_lt_i32_e32 vcc, 0, v2
	s_and_saveexec_b64 s[16:17], vcc
	s_xor_b64 s[16:17], exec, s[16:17]
	s_cbranch_execz .LBB0_154
; %bb.147:
	buffer_load_dword v2, off, s[0:3], s33 offset:828 ; 4-byte Folded Reload
                                        ; implicit-def: $vgpr44_vgpr45
                                        ; implicit-def: $vgpr56_vgpr57
                                        ; implicit-def: $vgpr41_vgpr42
                                        ; implicit-def: $vgpr58_vgpr59
                                        ; implicit-def: $vgpr52_vgpr53
	s_waitcnt vmcnt(0)
	v_cmp_lt_i32_e32 vcc, 1, v2
	s_and_saveexec_b64 s[18:19], vcc
	s_xor_b64 s[18:19], exec, s[18:19]
	s_cbranch_execz .LBB0_151
; %bb.148:
	buffer_load_dword v2, off, s[0:3], s33 offset:828 ; 4-byte Folded Reload
	v_mov_b32_e32 v44, 0
	v_mov_b32_e32 v56, 0
	;; [unrolled: 1-line block ×10, first 2 shown]
	s_waitcnt vmcnt(0)
	v_cmp_eq_u32_e32 vcc, 2, v2
	s_and_saveexec_b64 s[20:21], vcc
	s_cbranch_execz .LBB0_150
; %bb.149:
	v_fma_f64 v[2:3], v[0:1], 2.0, v[0:1]
	v_add_f64 v[2:3], v[2:3], -v[46:47]
	v_div_scale_f64 v[16:17], s[22:23], v[48:49], v[48:49], v[2:3]
	s_mov_b32 s22, 0
	s_mov_b32 s23, 0xc01e0000
	v_add_f64 v[50:51], v[50:51], s[22:23]
	s_mov_b32 s22, 0x136ccd62
	s_mov_b32 s23, 0x3cc4b22d
	v_rcp_f64_e32 v[30:31], v[16:17]
	v_fma_f64 v[32:33], -v[16:17], v[30:31], 1.0
	v_fma_f64 v[30:31], v[30:31], v[32:33], v[30:31]
	v_fma_f64 v[32:33], -v[16:17], v[30:31], 1.0
	v_fma_f64 v[30:31], v[30:31], v[32:33], v[30:31]
	v_div_scale_f64 v[32:33], vcc, v[2:3], v[48:49], v[2:3]
	v_mul_f64 v[34:35], v[32:33], v[30:31]
	v_fma_f64 v[16:17], -v[16:17], v[34:35], v[32:33]
	s_nop 1
	v_div_fmas_f64 v[16:17], v[16:17], v[30:31], v[34:35]
	v_div_fixup_f64 v[44:45], v[16:17], v[48:49], v[2:3]
	v_mov_b32_e32 v2, 0xd44f4e0
	v_mov_b32_e32 v3, 0x3cc9a5f9
	v_fma_f64 v[2:3], v[50:51], s[22:23], v[2:3]
	s_mov_b32 s22, 0x13514cb1
	s_mov_b32 s23, 0xbd32f64e
	v_fma_f64 v[2:3], v[50:51], v[2:3], s[22:23]
	s_mov_b32 s22, 0x9c556712
	s_mov_b32 s23, 0xbd660aa9
	;; [unrolled: 3-line block ×11, first 2 shown]
	v_fma_f64 v[52:53], v[50:51], v[2:3], s[22:23]
	s_mov_b32 s22, 0x83f527a3
	v_mov_b32_e32 v2, 0x96a2973a
	v_mov_b32_e32 v3, 0x3cff7f3f
	s_mov_b32 s23, 0x3d098cc2
	v_fma_f64 v[2:3], v[50:51], s[22:23], v[2:3]
	s_mov_b32 s22, 0x9914dc55
	s_mov_b32 s23, 0xbd6e3e3e
	v_fma_f64 v[2:3], v[50:51], v[2:3], s[22:23]
	s_mov_b32 s22, 0x339d6523
	s_mov_b32 s23, 0xbd974816
	v_fma_f64 v[2:3], v[50:51], v[2:3], s[22:23]
	s_mov_b32 s22, 0x7f28a30b
	s_mov_b32 s23, 0xbdbb66d9
	v_fma_f64 v[2:3], v[50:51], v[2:3], s[22:23]
	s_mov_b32 s22, 0x4c5f0791
	s_mov_b32 s23, 0x3e278252
	v_fma_f64 v[2:3], v[50:51], v[2:3], s[22:23]
	s_mov_b32 s22, 0xa083a647
	s_mov_b32 s23, 0xbe46e787
	v_fma_f64 v[2:3], v[50:51], v[2:3], s[22:23]
	s_mov_b32 s22, 0x1a1e33aa
	s_mov_b32 s23, 0xbe9d8b7b
	v_fma_f64 v[2:3], v[50:51], v[2:3], s[22:23]
	s_mov_b32 s22, 0xc51cac82
	s_mov_b32 s23, 0x3ee44d73
	v_fma_f64 v[2:3], v[50:51], v[2:3], s[22:23]
	s_mov_b32 s22, 0x469c9c00
	s_mov_b32 s23, 0xbf260c3a
	v_fma_f64 v[2:3], v[50:51], v[2:3], s[22:23]
	s_mov_b32 s22, 0x5f884a87
	s_mov_b32 s23, 0x3f6612a4
	v_fma_f64 v[2:3], v[50:51], v[2:3], s[22:23]
	s_mov_b32 s22, 0x9f05949e
	s_mov_b32 s23, 0xbfa094b3
	v_fma_f64 v[2:3], v[50:51], v[2:3], s[22:23]
	s_mov_b32 s22, 0xc1e010c6
	s_mov_b32 s23, 0x3fd1a97b
	v_fma_f64 v[58:59], v[50:51], v[2:3], s[22:23]
	s_mov_b32 s22, 0xd4a5627c
	v_mov_b32_e32 v2, 0xae0d0bf3
	v_mov_b32_e32 v3, 0x3d4a07ba
	s_mov_b32 s23, 0x3cfe025e
	v_fma_f64 v[2:3], v[50:51], s[22:23], v[2:3]
	s_mov_b32 s22, 0xef3b2539
	s_mov_b32 s23, 0xbd817623
	v_fma_f64 v[2:3], v[50:51], v[2:3], s[22:23]
	s_mov_b32 s22, 0x7fd755ca
	;; [unrolled: 3-line block ×12, first 2 shown]
	s_mov_b32 s23, 0x3ffbc5f3
	v_fma_f64 v[41:42], v[50:51], v[2:3], s[22:23]
	v_add_f64 v[2:3], v[52:53], 1.0
	v_add_f64 v[48:49], v[41:42], 1.0
	v_div_scale_f64 v[16:17], s[22:23], v[2:3], v[2:3], v[52:53]
	v_rcp_f64_e32 v[30:31], v[16:17]
	v_fma_f64 v[32:33], -v[16:17], v[30:31], 1.0
	v_fma_f64 v[30:31], v[30:31], v[32:33], v[30:31]
	v_fma_f64 v[32:33], -v[16:17], v[30:31], 1.0
	v_fma_f64 v[30:31], v[30:31], v[32:33], v[30:31]
	v_div_scale_f64 v[32:33], vcc, v[52:53], v[2:3], v[52:53]
	v_mul_f64 v[34:35], v[32:33], v[30:31]
	v_fma_f64 v[16:17], -v[16:17], v[34:35], v[32:33]
	s_nop 1
	v_div_fmas_f64 v[16:17], v[16:17], v[30:31], v[34:35]
	v_div_fixup_f64 v[50:51], v[16:17], v[2:3], v[52:53]
	v_add_f64 v[2:3], v[58:59], 1.0
	v_div_scale_f64 v[16:17], s[22:23], v[2:3], v[2:3], v[58:59]
	v_rcp_f64_e32 v[30:31], v[16:17]
	v_fma_f64 v[32:33], -v[16:17], v[30:31], 1.0
	v_fma_f64 v[30:31], v[30:31], v[32:33], v[30:31]
	v_fma_f64 v[32:33], -v[16:17], v[30:31], 1.0
	v_fma_f64 v[30:31], v[30:31], v[32:33], v[30:31]
	v_div_scale_f64 v[32:33], vcc, v[58:59], v[2:3], v[58:59]
	v_mul_f64 v[34:35], v[32:33], v[30:31]
	v_fma_f64 v[16:17], -v[16:17], v[34:35], v[32:33]
	s_nop 1
	v_div_fmas_f64 v[16:17], v[16:17], v[30:31], v[34:35]
	v_div_fixup_f64 v[46:47], v[16:17], v[2:3], v[58:59]
	v_div_scale_f64 v[2:3], s[22:23], v[48:49], v[48:49], v[41:42]
	v_rcp_f64_e32 v[16:17], v[2:3]
	v_fma_f64 v[30:31], -v[2:3], v[16:17], 1.0
	v_fma_f64 v[16:17], v[16:17], v[30:31], v[16:17]
	v_fma_f64 v[30:31], -v[2:3], v[16:17], 1.0
	v_fma_f64 v[16:17], v[16:17], v[30:31], v[16:17]
	v_div_scale_f64 v[30:31], vcc, v[41:42], v[48:49], v[41:42]
	v_mul_f64 v[32:33], v[30:31], v[16:17]
	v_fma_f64 v[2:3], -v[2:3], v[32:33], v[30:31]
	v_fma_f64 v[30:31], -v[54:55], v[50:51], v[0:1]
	s_nop 0
	v_div_fmas_f64 v[2:3], v[2:3], v[16:17], v[32:33]
	v_fma_f64 v[16:17], -v[0:1], v[50:51], v[44:45]
	v_fma_f64 v[32:33], -v[46:47], v[30:31], v[16:17]
	v_div_fixup_f64 v[2:3], v[2:3], v[48:49], v[41:42]
	v_add_f64 v[34:35], v[2:3], -v[46:47]
	v_add_f64 v[36:37], v[2:3], -v[50:51]
	v_fma_f64 v[2:3], v[2:3], v[30:31], -v[16:17]
	v_add_f64 v[16:17], v[46:47], -v[50:51]
	v_mul_f64 v[36:37], v[34:35], v[36:37]
	v_mul_f64 v[16:17], v[16:17], v[34:35]
	v_div_scale_f64 v[38:39], s[22:23], v[36:37], v[36:37], v[32:33]
	v_div_scale_f64 v[30:31], s[22:23], v[16:17], v[16:17], v[2:3]
	v_rcp_f64_e32 v[48:49], v[38:39]
	v_fma_f64 v[43:44], -v[38:39], v[48:49], 1.0
	v_fma_f64 v[48:49], v[48:49], v[43:44], v[48:49]
	v_fma_f64 v[43:44], -v[38:39], v[48:49], 1.0
	v_fma_f64 v[48:49], v[48:49], v[43:44], v[48:49]
	v_div_scale_f64 v[43:44], vcc, v[32:33], v[36:37], v[32:33]
	v_mul_f64 v[56:57], v[43:44], v[48:49]
	v_fma_f64 v[38:39], -v[38:39], v[56:57], v[43:44]
	s_nop 1
	v_div_fmas_f64 v[38:39], v[38:39], v[48:49], v[56:57]
	v_div_fixup_f64 v[44:45], v[38:39], v[36:37], v[32:33]
	v_rcp_f64_e32 v[32:33], v[30:31]
	v_fma_f64 v[34:35], -v[30:31], v[32:33], 1.0
	v_fma_f64 v[32:33], v[32:33], v[34:35], v[32:33]
	v_fma_f64 v[34:35], -v[30:31], v[32:33], 1.0
	v_fma_f64 v[32:33], v[32:33], v[34:35], v[32:33]
	v_div_scale_f64 v[34:35], vcc, v[2:3], v[16:17], v[2:3]
	v_mul_f64 v[36:37], v[34:35], v[32:33]
	v_fma_f64 v[30:31], -v[30:31], v[36:37], v[34:35]
	s_nop 1
	v_div_fmas_f64 v[30:31], v[30:31], v[32:33], v[36:37]
	v_div_fixup_f64 v[56:57], v[30:31], v[16:17], v[2:3]
	v_add_f64 v[2:3], v[54:55], -v[56:57]
	v_add_f64 v[54:55], v[2:3], -v[44:45]
.LBB0_150:
	s_or_b64 exec, exec, s[20:21]
                                        ; implicit-def: $vgpr50_vgpr51
                                        ; implicit-def: $vgpr0_vgpr1
.LBB0_151:
	s_andn2_saveexec_b64 s[18:19], s[18:19]
	s_cbranch_execz .LBB0_153
; %bb.152:
	s_mov_b32 s20, 0
	s_mov_b32 s21, 0xc01e0000
	v_add_f64 v[50:51], v[50:51], s[20:21]
	s_mov_b32 s20, 0xc8096513
	v_mov_b32_e32 v2, 0x9bb322b7
	v_mov_b32_e32 v3, 0x3cb129fe
	s_mov_b32 s21, 0xbca4b31c
	v_mov_b32_e32 v44, 0
	v_mov_b32_e32 v41, 0
	;; [unrolled: 1-line block ×3, first 2 shown]
	v_fma_f64 v[2:3], v[50:51], s[20:21], v[2:3]
	s_mov_b32 s20, 0xf344837f
	s_mov_b32 s21, 0x3d0e962d
	v_mov_b32_e32 v42, 0
	v_fma_f64 v[2:3], v[50:51], v[2:3], s[20:21]
	s_mov_b32 s20, 0x704323a2
	s_mov_b32 s21, 0xbd33e286
	v_fma_f64 v[2:3], v[50:51], v[2:3], s[20:21]
	s_mov_b32 s20, 0x7172d8d3
	s_mov_b32 s21, 0xbd6b28ed
	;; [unrolled: 3-line block ×12, first 2 shown]
	v_fma_f64 v[52:53], v[50:51], v[2:3], s[20:21]
	s_mov_b32 s20, 0x284a2a61
	v_mov_b32_e32 v2, 0x8b28e7d9
	v_mov_b32_e32 v3, 0xbd432801
	s_mov_b32 s21, 0x3d1c02ee
	v_fma_f64 v[2:3], v[50:51], s[20:21], v[2:3]
	s_mov_b32 s20, 0x73e17dd6
	s_mov_b32 s21, 0xbd8390c1
	v_fma_f64 v[2:3], v[50:51], v[2:3], s[20:21]
	s_mov_b32 s20, 0x2901fb87
	;; [unrolled: 3-line block ×12, first 2 shown]
	s_mov_b32 s21, 0x3fe16eb7
	v_fma_f64 v[58:59], v[50:51], v[2:3], s[20:21]
	v_add_f64 v[2:3], v[0:1], -v[54:55]
	v_add_f64 v[16:17], v[58:59], 1.0
	v_fma_f64 v[2:3], v[2:3], v[52:53], v[0:1]
	v_mul_f64 v[2:3], v[16:17], v[2:3]
	v_add_f64 v[16:17], v[58:59], -v[52:53]
	v_div_scale_f64 v[30:31], s[20:21], v[16:17], v[16:17], v[2:3]
	v_rcp_f64_e32 v[32:33], v[30:31]
	v_fma_f64 v[34:35], -v[30:31], v[32:33], 1.0
	v_fma_f64 v[32:33], v[32:33], v[34:35], v[32:33]
	v_fma_f64 v[34:35], -v[30:31], v[32:33], 1.0
	v_fma_f64 v[32:33], v[32:33], v[34:35], v[32:33]
	v_div_scale_f64 v[34:35], vcc, v[2:3], v[16:17], v[2:3]
	v_mul_f64 v[36:37], v[34:35], v[32:33]
	v_fma_f64 v[30:31], -v[30:31], v[36:37], v[34:35]
	s_nop 1
	v_div_fmas_f64 v[30:31], v[30:31], v[32:33], v[36:37]
	v_div_fixup_f64 v[56:57], v[30:31], v[16:17], v[2:3]
	v_add_f64 v[54:55], v[54:55], -v[56:57]
.LBB0_153:
	s_or_b64 exec, exec, s[18:19]
                                        ; implicit-def: $vgpr0_vgpr1
.LBB0_154:
	s_andn2_saveexec_b64 s[16:17], s[16:17]
	s_cbranch_execz .LBB0_158
; %bb.155:
	buffer_load_dword v2, off, s[0:3], s33 offset:828 ; 4-byte Folded Reload
	v_mov_b32_e32 v44, 0
	v_mov_b32_e32 v52, 0
	;; [unrolled: 1-line block ×4, first 2 shown]
	s_waitcnt vmcnt(0)
	v_cmp_eq_u32_e32 vcc, 0, v2
	s_and_saveexec_b64 s[18:19], vcc
	s_cbranch_execz .LBB0_157
; %bb.156:
	v_add_f64 v[2:3], v[54:55], -v[0:1]
	v_div_scale_f64 v[16:17], s[20:21], v[2:3], v[2:3], v[0:1]
	v_div_scale_f64 v[34:35], vcc, v[0:1], v[2:3], v[0:1]
	v_rcp_f64_e32 v[30:31], v[16:17]
	v_fma_f64 v[32:33], -v[16:17], v[30:31], 1.0
	v_fma_f64 v[30:31], v[30:31], v[32:33], v[30:31]
	v_fma_f64 v[32:33], -v[16:17], v[30:31], 1.0
	v_fma_f64 v[30:31], v[30:31], v[32:33], v[30:31]
	v_mul_f64 v[32:33], v[34:35], v[30:31]
	v_fma_f64 v[16:17], -v[16:17], v[32:33], v[34:35]
	v_div_fmas_f64 v[16:17], v[16:17], v[30:31], v[32:33]
	v_div_fixup_f64 v[52:53], v[16:17], v[2:3], v[0:1]
.LBB0_157:
	s_or_b64 exec, exec, s[18:19]
	v_mov_b32_e32 v56, 0
	v_mov_b32_e32 v41, 0
	;; [unrolled: 1-line block ×6, first 2 shown]
.LBB0_158:
	s_or_b64 exec, exec, s[16:17]
.LBB0_159:
	s_or_b64 exec, exec, s[14:15]
                                        ; implicit-def: $vgpr50_vgpr51
.LBB0_160:
	s_andn2_saveexec_b64 s[12:13], s[12:13]
	s_cbranch_execz .LBB0_298
; %bb.161:
	buffer_load_dword v2, off, s[0:3], s33 offset:828 ; 4-byte Folded Reload
	s_waitcnt vmcnt(2)
	v_add_f64 v[46:47], v[50:51], -4.0
                                        ; implicit-def: $vgpr44_vgpr45
                                        ; implicit-def: $vgpr56_vgpr57
                                        ; implicit-def: $vgpr54_vgpr55
                                        ; implicit-def: $vgpr41_vgpr42
                                        ; implicit-def: $vgpr58_vgpr59
                                        ; implicit-def: $vgpr52_vgpr53
	s_waitcnt vmcnt(0)
	v_cmp_lt_i32_e32 vcc, 0, v2
	s_and_saveexec_b64 s[14:15], vcc
	s_xor_b64 s[14:15], exec, s[14:15]
	s_cbranch_execz .LBB0_169
; %bb.162:
	buffer_load_dword v2, off, s[0:3], s33 offset:828 ; 4-byte Folded Reload
                                        ; implicit-def: $vgpr44_vgpr45
                                        ; implicit-def: $vgpr56_vgpr57
                                        ; implicit-def: $vgpr54_vgpr55
                                        ; implicit-def: $vgpr41_vgpr42
                                        ; implicit-def: $vgpr58_vgpr59
                                        ; implicit-def: $vgpr52_vgpr53
	s_waitcnt vmcnt(0)
	v_cmp_lt_i32_e32 vcc, 1, v2
	s_and_saveexec_b64 s[16:17], vcc
	s_xor_b64 s[16:17], exec, s[16:17]
	s_cbranch_execz .LBB0_166
; %bb.163:
	buffer_load_dword v2, off, s[0:3], s33 offset:828 ; 4-byte Folded Reload
	v_mov_b32_e32 v44, 0
	v_mov_b32_e32 v56, 0
	;; [unrolled: 1-line block ×12, first 2 shown]
	s_waitcnt vmcnt(0)
	v_cmp_eq_u32_e32 vcc, 2, v2
	s_and_saveexec_b64 s[18:19], vcc
	s_cbranch_execz .LBB0_165
; %bb.164:
	s_mov_b32 s20, 0xfb34e0d3
	v_mov_b32_e32 v2, 0x68302304
	v_mov_b32_e32 v3, 0xbe000873
	s_mov_b32 s21, 0x3dafb96f
	v_fma_f64 v[2:3], v[46:47], s[20:21], v[2:3]
	s_mov_b32 s20, 0xfad6a4de
	s_mov_b32 s21, 0x3e406d2a
	v_add_f64 v[16:17], v[50:51], v[50:51]
	v_fma_f64 v[2:3], v[46:47], v[2:3], s[20:21]
	s_mov_b32 s20, 0xae32011a
	s_mov_b32 s21, 0xbe80820a
	v_fma_f64 v[2:3], v[46:47], v[2:3], s[20:21]
	s_mov_b32 s20, 0x74ee91c2
	s_mov_b32 s21, 0x3ec0fece
	;; [unrolled: 3-line block ×6, first 2 shown]
	v_fma_f64 v[52:53], v[46:47], v[2:3], s[20:21]
	s_mov_b32 s20, 0xc0ebc727
	v_mov_b32_e32 v2, 0x94184e10
	v_mov_b32_e32 v3, 0x3deb26a3
	s_mov_b32 s21, 0xbdbd31e4
	v_fma_f64 v[2:3], v[46:47], s[20:21], v[2:3]
	s_mov_b32 s20, 0x62360679
	s_mov_b32 s21, 0x3e228d41
	v_fma_f64 v[2:3], v[46:47], v[2:3], s[20:21]
	s_mov_b32 s20, 0x2720acbd
	;; [unrolled: 3-line block ×9, first 2 shown]
	v_mov_b32_e32 v2, 0x306569a3
	v_mov_b32_e32 v3, 0xbe31e29f
	s_mov_b32 s21, 0xbdfafecd
	v_fma_f64 v[2:3], v[46:47], s[20:21], v[2:3]
	s_mov_b32 s20, 0x8008685d
	s_mov_b32 s21, 0x3e67c07a
	v_fma_f64 v[2:3], v[46:47], v[2:3], s[20:21]
	s_mov_b32 s20, 0x52d3e3e0
	;; [unrolled: 3-line block ×9, first 2 shown]
	v_mov_b32_e32 v2, 0x779ccc18
	v_mov_b32_e32 v3, 0x3df3debc
	s_mov_b32 s21, 0xbdba0902
	v_fma_f64 v[2:3], v[46:47], s[20:21], v[2:3]
	s_mov_b32 s20, 0x8a6f9cbe
	s_mov_b32 s21, 0xbe2b5357
	v_add_f64 v[48:49], v[41:42], 1.0
	v_fma_f64 v[2:3], v[46:47], v[2:3], s[20:21]
	s_mov_b32 s20, 0x292b0b5e
	s_mov_b32 s21, 0x3e617765
	v_fma_f64 v[2:3], v[46:47], v[2:3], s[20:21]
	s_mov_b32 s20, 0xf90ee24
	s_mov_b32 s21, 0xbe9430f9
	;; [unrolled: 3-line block ×10, first 2 shown]
	v_mul_f64 v[2:3], v[50:51], s[20:21]
	s_mov_b32 s20, 0xfefa39ef
	s_mov_b32 s21, 0xbfe62e42
	v_rndne_f64_e32 v[44:45], v[2:3]
	v_fma_f64 v[2:3], v[44:45], s[20:21], -v[50:51]
	s_mov_b32 s20, 0x3b39803f
	s_mov_b32 s21, 0xbc7abc9e
	v_cvt_i32_f64_e32 v11, v[44:45]
	v_fma_f64 v[46:47], v[44:45], s[20:21], v[2:3]
	s_mov_b32 s20, 0x6a5dcb37
	v_mov_b32_e32 v2, 0xfca7ab0c
	v_mov_b32_e32 v3, 0x3e928af3
	s_mov_b32 s21, 0x3e5ade15
	v_fma_f64 v[2:3], v[46:47], s[20:21], v[2:3]
	s_mov_b32 s20, 0x623fde64
	s_mov_b32 s21, 0x3ec71dee
	v_fma_f64 v[2:3], v[46:47], v[2:3], s[20:21]
	s_mov_b32 s20, 0x7c89e6b0
	;; [unrolled: 3-line block ×9, first 2 shown]
	s_mov_b32 s21, 0x4090cc00
	v_cmp_nlt_f64_e32 vcc, s[20:21], v[50:51]
	s_mov_b32 s20, 0
	s_mov_b32 s21, 0x40080000
	v_fma_f64 v[2:3], v[46:47], v[2:3], 1.0
	v_fma_f64 v[2:3], v[46:47], v[2:3], 1.0
	v_ldexp_f64 v[2:3], v[2:3], v11
	v_cndmask_b32_e32 v3, 0, v3, vcc
	v_cndmask_b32_e32 v2, 0, v2, vcc
	v_fma_f64 v[30:31], v[16:17], v[54:55], v[2:3]
	v_div_scale_f64 v[32:33], s[22:23], s[20:21], s[20:21], v[30:31]
	v_rcp_f64_e32 v[34:35], v[32:33]
	v_fma_f64 v[36:37], -v[32:33], v[34:35], 1.0
	v_fma_f64 v[34:35], v[34:35], v[36:37], v[34:35]
	v_fma_f64 v[36:37], -v[32:33], v[34:35], 1.0
	v_fma_f64 v[34:35], v[34:35], v[36:37], v[34:35]
	v_div_scale_f64 v[36:37], vcc, v[30:31], s[20:21], v[30:31]
	v_mul_f64 v[38:39], v[36:37], v[34:35]
	v_fma_f64 v[32:33], -v[32:33], v[38:39], v[36:37]
	s_nop 1
	v_div_fmas_f64 v[32:33], v[32:33], v[34:35], v[38:39]
	v_div_fixup_f64 v[44:45], v[32:33], s[20:21], v[30:31]
	v_fma_f64 v[50:51], v[16:17], v[44:45], v[2:3]
	v_add_f64 v[2:3], v[52:53], 1.0
	v_div_scale_f64 v[16:17], s[20:21], v[2:3], v[2:3], v[52:53]
	v_rcp_f64_e32 v[30:31], v[16:17]
	v_fma_f64 v[32:33], -v[16:17], v[30:31], 1.0
	v_fma_f64 v[30:31], v[30:31], v[32:33], v[30:31]
	v_fma_f64 v[32:33], -v[16:17], v[30:31], 1.0
	v_fma_f64 v[30:31], v[30:31], v[32:33], v[30:31]
	v_div_scale_f64 v[32:33], vcc, v[52:53], v[2:3], v[52:53]
	v_mul_f64 v[34:35], v[32:33], v[30:31]
	v_fma_f64 v[16:17], -v[16:17], v[34:35], v[32:33]
	s_nop 1
	v_div_fmas_f64 v[16:17], v[16:17], v[30:31], v[34:35]
	v_div_fixup_f64 v[46:47], v[16:17], v[2:3], v[52:53]
	v_add_f64 v[2:3], v[58:59], 1.0
	v_div_scale_f64 v[16:17], s[20:21], v[2:3], v[2:3], v[58:59]
	v_rcp_f64_e32 v[30:31], v[16:17]
	v_fma_f64 v[32:33], -v[16:17], v[30:31], 1.0
	v_fma_f64 v[30:31], v[30:31], v[32:33], v[30:31]
	v_fma_f64 v[32:33], -v[16:17], v[30:31], 1.0
	v_fma_f64 v[30:31], v[30:31], v[32:33], v[30:31]
	v_div_scale_f64 v[32:33], vcc, v[58:59], v[2:3], v[58:59]
	v_mul_f64 v[34:35], v[32:33], v[30:31]
	v_fma_f64 v[16:17], -v[16:17], v[34:35], v[32:33]
	s_nop 1
	v_div_fmas_f64 v[16:17], v[16:17], v[30:31], v[34:35]
	v_div_fixup_f64 v[56:57], v[16:17], v[2:3], v[58:59]
	v_div_scale_f64 v[2:3], s[20:21], v[48:49], v[48:49], v[41:42]
	v_rcp_f64_e32 v[16:17], v[2:3]
	v_fma_f64 v[30:31], -v[2:3], v[16:17], 1.0
	v_fma_f64 v[16:17], v[16:17], v[30:31], v[16:17]
	v_fma_f64 v[30:31], -v[2:3], v[16:17], 1.0
	v_fma_f64 v[16:17], v[16:17], v[30:31], v[16:17]
	v_div_scale_f64 v[30:31], vcc, v[41:42], v[48:49], v[41:42]
	v_mul_f64 v[32:33], v[30:31], v[16:17]
	v_fma_f64 v[2:3], -v[2:3], v[32:33], v[30:31]
	v_fma_f64 v[30:31], -v[46:47], v[50:51], v[44:45]
	s_nop 0
	v_div_fmas_f64 v[2:3], v[2:3], v[16:17], v[32:33]
	v_fma_f64 v[16:17], -v[46:47], v[44:45], v[54:55]
	v_fma_f64 v[32:33], -v[56:57], v[30:31], v[16:17]
	v_div_fixup_f64 v[2:3], v[2:3], v[48:49], v[41:42]
	v_add_f64 v[34:35], v[2:3], -v[56:57]
	v_add_f64 v[36:37], v[2:3], -v[46:47]
	v_fma_f64 v[2:3], v[2:3], v[30:31], -v[16:17]
	v_add_f64 v[16:17], v[56:57], -v[46:47]
	v_mul_f64 v[36:37], v[34:35], v[36:37]
	v_mul_f64 v[16:17], v[34:35], v[16:17]
	v_div_scale_f64 v[38:39], s[20:21], v[36:37], v[36:37], v[32:33]
	v_div_scale_f64 v[30:31], s[20:21], v[16:17], v[16:17], v[2:3]
	v_rcp_f64_e32 v[48:49], v[38:39]
	v_fma_f64 v[54:55], -v[38:39], v[48:49], 1.0
	v_fma_f64 v[48:49], v[48:49], v[54:55], v[48:49]
	v_fma_f64 v[54:55], -v[38:39], v[48:49], 1.0
	v_fma_f64 v[48:49], v[48:49], v[54:55], v[48:49]
	v_div_scale_f64 v[54:55], vcc, v[32:33], v[36:37], v[32:33]
	v_mul_f64 v[43:44], v[54:55], v[48:49]
	v_fma_f64 v[38:39], -v[38:39], v[43:44], v[54:55]
	s_nop 1
	v_div_fmas_f64 v[38:39], v[38:39], v[48:49], v[43:44]
	v_div_fixup_f64 v[44:45], v[38:39], v[36:37], v[32:33]
	v_rcp_f64_e32 v[32:33], v[30:31]
	v_fma_f64 v[34:35], -v[30:31], v[32:33], 1.0
	v_fma_f64 v[32:33], v[32:33], v[34:35], v[32:33]
	v_fma_f64 v[34:35], -v[30:31], v[32:33], 1.0
	v_fma_f64 v[32:33], v[32:33], v[34:35], v[32:33]
	v_div_scale_f64 v[34:35], vcc, v[2:3], v[16:17], v[2:3]
	v_mul_f64 v[36:37], v[34:35], v[32:33]
	v_fma_f64 v[30:31], -v[30:31], v[36:37], v[34:35]
	s_nop 1
	v_div_fmas_f64 v[30:31], v[30:31], v[32:33], v[36:37]
	v_div_fixup_f64 v[56:57], v[30:31], v[16:17], v[2:3]
	v_add_f64 v[2:3], v[50:51], -v[56:57]
	v_add_f64 v[54:55], v[2:3], -v[44:45]
.LBB0_165:
	s_or_b64 exec, exec, s[18:19]
                                        ; implicit-def: $vgpr46_vgpr47
                                        ; implicit-def: $vgpr50_vgpr51
.LBB0_166:
	s_andn2_saveexec_b64 s[16:17], s[16:17]
	s_cbranch_execz .LBB0_168
; %bb.167:
	s_mov_b32 s18, 0x3e0f0946
	v_mov_b32_e32 v2, 0x140c5ae4
	v_mov_b32_e32 v3, 0x3df6446a
	s_mov_b32 s19, 0xbdbcdb69
	v_fma_f64 v[2:3], v[46:47], s[18:19], v[2:3]
	s_mov_b32 s18, 0xbf6cfa0d
	s_mov_b32 s19, 0xbe2f0d64
	v_mov_b32_e32 v16, 0xfca7ab0c
	v_mov_b32_e32 v17, 0x3e928af3
	v_add_f64 v[52:53], v[50:51], v[50:51]
	v_mov_b32_e32 v44, 0
	v_mov_b32_e32 v45, 0
	v_fma_f64 v[2:3], v[46:47], v[2:3], s[18:19]
	s_mov_b32 s18, 0xbe769d26
	s_mov_b32 s19, 0x3e64300e
	v_fma_f64 v[2:3], v[46:47], v[2:3], s[18:19]
	s_mov_b32 s18, 0x7a1bb26e
	s_mov_b32 s19, 0xbe97d8f7
	;; [unrolled: 3-line block ×10, first 2 shown]
	v_mul_f64 v[2:3], v[50:51], s[18:19]
	s_mov_b32 s18, 0xfefa39ef
	s_mov_b32 s19, 0xbfe62e42
	v_rndne_f64_e32 v[41:42], v[2:3]
	v_fma_f64 v[2:3], v[41:42], s[18:19], -v[50:51]
	s_mov_b32 s18, 0x3b39803f
	s_mov_b32 s19, 0xbc7abc9e
	v_cvt_i32_f64_e32 v11, v[41:42]
	v_fma_f64 v[2:3], v[41:42], s[18:19], v[2:3]
	s_mov_b32 s18, 0x6a5dcb37
	s_mov_b32 s19, 0x3e5ade15
	v_mov_b32_e32 v41, 0
	v_mov_b32_e32 v42, 0
	v_fma_f64 v[16:17], v[2:3], s[18:19], v[16:17]
	s_mov_b32 s18, 0x623fde64
	s_mov_b32 s19, 0x3ec71dee
	v_fma_f64 v[16:17], v[2:3], v[16:17], s[18:19]
	s_mov_b32 s18, 0x7c89e6b0
	s_mov_b32 s19, 0x3efa0199
	;; [unrolled: 3-line block ×9, first 2 shown]
	v_cmp_nlt_f64_e32 vcc, s[18:19], v[50:51]
	s_mov_b32 s18, 0x465450e5
	s_mov_b32 s19, 0xbd9219c1
	v_fma_f64 v[16:17], v[2:3], v[16:17], 1.0
	v_fma_f64 v[2:3], v[2:3], v[16:17], 1.0
	v_ldexp_f64 v[2:3], v[2:3], v11
	v_cndmask_b32_e32 v3, 0, v3, vcc
	v_cndmask_b32_e32 v2, 0, v2, vcc
	v_fma_f64 v[50:51], v[52:53], v[54:55], v[2:3]
	v_mov_b32_e32 v2, 0x1fc4da1
	v_mov_b32_e32 v3, 0x3dd38a96
	v_fma_f64 v[2:3], v[46:47], s[18:19], v[2:3]
	s_mov_b32 s18, 0x1eb95e12
	s_mov_b32 s19, 0xbe1dcf00
	v_fma_f64 v[2:3], v[46:47], v[2:3], s[18:19]
	s_mov_b32 s18, 0x7ea1467b
	s_mov_b32 s19, 0x3e6fd70c
	;; [unrolled: 3-line block ×8, first 2 shown]
	v_fma_f64 v[52:53], v[46:47], v[2:3], s[18:19]
	s_mov_b32 s18, 0x7e3c759f
	v_mov_b32_e32 v2, 0x4cd1b45e
	v_mov_b32_e32 v3, 0x3e02b1b6
	s_mov_b32 s19, 0xbde8d0bc
	v_fma_f64 v[2:3], v[46:47], s[18:19], v[2:3]
	s_mov_b32 s18, 0x6ff616ed
	s_mov_b32 s19, 0x3e5137a9
	v_fma_f64 v[2:3], v[46:47], v[2:3], s[18:19]
	s_mov_b32 s18, 0xab4df8c8
	s_mov_b32 s19, 0xbe841b0a
	v_fma_f64 v[2:3], v[46:47], v[2:3], s[18:19]
	s_mov_b32 s18, 0x2cdc5241
	s_mov_b32 s19, 0xbea78b8f
	v_fma_f64 v[2:3], v[46:47], v[2:3], s[18:19]
	s_mov_b32 s18, 0xdd8361dd
	s_mov_b32 s19, 0x3ef37dbf
	v_fma_f64 v[2:3], v[46:47], v[2:3], s[18:19]
	s_mov_b32 s18, 0x7f2feeba
	s_mov_b32 s19, 0xbef5767b
	v_fma_f64 v[2:3], v[46:47], v[2:3], s[18:19]
	s_mov_b32 s18, 0xcf66af5
	s_mov_b32 s19, 0xbf646cc8
	v_fma_f64 v[2:3], v[46:47], v[2:3], s[18:19]
	s_mov_b32 s18, 0x972bc943
	s_mov_b32 s19, 0x3fa24161
	v_fma_f64 v[2:3], v[46:47], v[2:3], s[18:19]
	s_mov_b32 s18, 0xd1130a9b
	s_mov_b32 s19, 0xbfd0aaad
	v_fma_f64 v[2:3], v[46:47], v[2:3], s[18:19]
	s_mov_b32 s18, 0x61a3cbac
	s_mov_b32 s19, 0x3ff1f1e1
	v_fma_f64 v[58:59], v[46:47], v[2:3], s[18:19]
	v_add_f64 v[2:3], v[54:55], -v[50:51]
	v_add_f64 v[16:17], v[58:59], 1.0
	v_fma_f64 v[2:3], v[52:53], v[2:3], v[54:55]
	v_mul_f64 v[2:3], v[16:17], v[2:3]
	v_add_f64 v[16:17], v[58:59], -v[52:53]
	v_div_scale_f64 v[30:31], s[18:19], v[16:17], v[16:17], v[2:3]
	v_rcp_f64_e32 v[32:33], v[30:31]
	v_fma_f64 v[34:35], -v[30:31], v[32:33], 1.0
	v_fma_f64 v[32:33], v[32:33], v[34:35], v[32:33]
	v_fma_f64 v[34:35], -v[30:31], v[32:33], 1.0
	v_fma_f64 v[32:33], v[32:33], v[34:35], v[32:33]
	v_div_scale_f64 v[34:35], vcc, v[2:3], v[16:17], v[2:3]
	v_mul_f64 v[36:37], v[34:35], v[32:33]
	v_fma_f64 v[30:31], -v[30:31], v[36:37], v[34:35]
	s_nop 1
	v_div_fmas_f64 v[30:31], v[30:31], v[32:33], v[36:37]
	v_div_fixup_f64 v[56:57], v[30:31], v[16:17], v[2:3]
	v_add_f64 v[54:55], v[50:51], -v[56:57]
.LBB0_168:
	s_or_b64 exec, exec, s[16:17]
                                        ; implicit-def: $vgpr46_vgpr47
                                        ; implicit-def: $vgpr50_vgpr51
.LBB0_169:
	s_andn2_saveexec_b64 s[14:15], s[14:15]
	s_cbranch_execz .LBB0_173
; %bb.170:
	buffer_load_dword v2, off, s[0:3], s33 offset:828 ; 4-byte Folded Reload
	v_mov_b32_e32 v44, 0
	v_mov_b32_e32 v54, 0
	;; [unrolled: 1-line block ×6, first 2 shown]
	s_waitcnt vmcnt(0)
	v_cmp_eq_u32_e32 vcc, 0, v2
	s_and_saveexec_b64 s[16:17], vcc
	s_cbranch_execz .LBB0_172
; %bb.171:
	s_mov_b32 s18, 0x3e0f0946
	v_mov_b32_e32 v2, 0x140c5ae4
	v_mov_b32_e32 v3, 0x3df6446a
	s_mov_b32 s19, 0xbdbcdb69
	v_fma_f64 v[2:3], v[46:47], s[18:19], v[2:3]
	s_mov_b32 s18, 0xbf6cfa0d
	s_mov_b32 s19, 0xbe2f0d64
	v_add_f64 v[54:55], v[50:51], v[50:51]
	v_fma_f64 v[2:3], v[46:47], v[2:3], s[18:19]
	s_mov_b32 s18, 0xbe769d26
	s_mov_b32 s19, 0x3e64300e
	v_fma_f64 v[2:3], v[46:47], v[2:3], s[18:19]
	s_mov_b32 s18, 0x7a1bb26e
	s_mov_b32 s19, 0xbe97d8f7
	;; [unrolled: 3-line block ×10, first 2 shown]
	v_mul_f64 v[2:3], v[50:51], s[18:19]
	s_mov_b32 s18, 0xfefa39ef
	s_mov_b32 s19, 0xbfe62e42
	v_rndne_f64_e32 v[41:42], v[2:3]
	v_fma_f64 v[2:3], v[41:42], s[18:19], -v[50:51]
	s_mov_b32 s18, 0x3b39803f
	s_mov_b32 s19, 0xbc7abc9e
	v_cvt_i32_f64_e32 v11, v[41:42]
	v_fma_f64 v[46:47], v[41:42], s[18:19], v[2:3]
	s_mov_b32 s18, 0x6a5dcb37
	v_mov_b32_e32 v2, 0xfca7ab0c
	v_mov_b32_e32 v3, 0x3e928af3
	s_mov_b32 s19, 0x3e5ade15
	v_fma_f64 v[2:3], v[46:47], s[18:19], v[2:3]
	s_mov_b32 s18, 0x623fde64
	s_mov_b32 s19, 0x3ec71dee
	v_fma_f64 v[2:3], v[46:47], v[2:3], s[18:19]
	s_mov_b32 s18, 0x7c89e6b0
	;; [unrolled: 3-line block ×9, first 2 shown]
	s_mov_b32 s19, 0x4090cc00
	v_cmp_nlt_f64_e32 vcc, s[18:19], v[50:51]
	v_fma_f64 v[2:3], v[46:47], v[2:3], 1.0
	v_fma_f64 v[2:3], v[46:47], v[2:3], 1.0
	v_ldexp_f64 v[2:3], v[2:3], v11
	v_cndmask_b32_e32 v3, 0, v3, vcc
	v_cndmask_b32_e32 v2, 0, v2, vcc
	v_fma_f64 v[54:55], v[54:55], v[52:53], v[2:3]
	v_add_f64 v[2:3], v[54:55], -v[52:53]
	v_div_scale_f64 v[16:17], s[18:19], v[2:3], v[2:3], v[52:53]
	v_rcp_f64_e32 v[30:31], v[16:17]
	v_fma_f64 v[32:33], -v[16:17], v[30:31], 1.0
	v_fma_f64 v[30:31], v[30:31], v[32:33], v[30:31]
	v_fma_f64 v[32:33], -v[16:17], v[30:31], 1.0
	v_fma_f64 v[30:31], v[30:31], v[32:33], v[30:31]
	v_div_scale_f64 v[32:33], vcc, v[52:53], v[2:3], v[52:53]
	v_mul_f64 v[34:35], v[32:33], v[30:31]
	v_fma_f64 v[16:17], -v[16:17], v[34:35], v[32:33]
	s_nop 1
	v_div_fmas_f64 v[16:17], v[16:17], v[30:31], v[34:35]
	v_div_fixup_f64 v[52:53], v[16:17], v[2:3], v[52:53]
.LBB0_172:
	s_or_b64 exec, exec, s[16:17]
	v_mov_b32_e32 v56, 0
	v_mov_b32_e32 v41, 0
	;; [unrolled: 1-line block ×6, first 2 shown]
.LBB0_173:
	s_or_b64 exec, exec, s[14:15]
	s_or_b64 exec, exec, s[12:13]
                                        ; implicit-def: $vgpr50_vgpr51
.LBB0_174:
	s_andn2_saveexec_b64 s[10:11], s[10:11]
	s_cbranch_execz .LBB0_299
.LBB0_175:
	buffer_load_dword v2, off, s[0:3], s33 offset:828 ; 4-byte Folded Reload
	s_waitcnt vmcnt(2)
	v_add_f64 v[46:47], v[50:51], -2.0
                                        ; implicit-def: $vgpr44_vgpr45
                                        ; implicit-def: $vgpr56_vgpr57
                                        ; implicit-def: $vgpr54_vgpr55
                                        ; implicit-def: $vgpr41_vgpr42
                                        ; implicit-def: $vgpr58_vgpr59
                                        ; implicit-def: $vgpr52_vgpr53
	s_waitcnt vmcnt(0)
	v_cmp_lt_i32_e32 vcc, 0, v2
	s_and_saveexec_b64 s[12:13], vcc
	s_xor_b64 s[12:13], exec, s[12:13]
	s_cbranch_execz .LBB0_183
; %bb.176:
	buffer_load_dword v2, off, s[0:3], s33 offset:828 ; 4-byte Folded Reload
                                        ; implicit-def: $vgpr44_vgpr45
                                        ; implicit-def: $vgpr56_vgpr57
                                        ; implicit-def: $vgpr54_vgpr55
                                        ; implicit-def: $vgpr41_vgpr42
                                        ; implicit-def: $vgpr58_vgpr59
                                        ; implicit-def: $vgpr52_vgpr53
	s_waitcnt vmcnt(0)
	v_cmp_lt_i32_e32 vcc, 1, v2
	s_and_saveexec_b64 s[14:15], vcc
	s_xor_b64 s[14:15], exec, s[14:15]
	s_cbranch_execz .LBB0_180
; %bb.177:
	buffer_load_dword v2, off, s[0:3], s33 offset:828 ; 4-byte Folded Reload
	v_mov_b32_e32 v44, 0
	v_mov_b32_e32 v56, 0
	v_mov_b32_e32 v54, 0
	v_mov_b32_e32 v41, 0
	v_mov_b32_e32 v58, 0
	v_mov_b32_e32 v52, 0
	v_mov_b32_e32 v45, 0
	v_mov_b32_e32 v57, 0
	v_mov_b32_e32 v55, 0
	v_mov_b32_e32 v42, 0
	v_mov_b32_e32 v59, 0
	v_mov_b32_e32 v53, 0
	s_waitcnt vmcnt(0)
	v_cmp_eq_u32_e32 vcc, 2, v2
	s_and_saveexec_b64 s[16:17], vcc
	s_cbranch_execz .LBB0_179
; %bb.178:
	s_mov_b32 s18, 0xb73671b8
	v_mov_b32_e32 v2, 0x6e2875fe
	v_mov_b32_e32 v3, 0x3d9557fe
	s_mov_b32 s19, 0x3d79742a
	v_fma_f64 v[2:3], v[46:47], s[18:19], v[2:3]
	s_mov_b32 s18, 0x26273604
	s_mov_b32 s19, 0xbe06824e
	v_add_f64 v[16:17], v[50:51], v[50:51]
	v_fma_f64 v[2:3], v[46:47], v[2:3], s[18:19]
	s_mov_b32 s18, 0xef7e01c8
	s_mov_b32 s19, 0x3e50d064
	v_fma_f64 v[2:3], v[46:47], v[2:3], s[18:19]
	s_mov_b32 s18, 0xd8933fe4
	s_mov_b32 s19, 0xbe9174de
	;; [unrolled: 3-line block ×7, first 2 shown]
	v_fma_f64 v[52:53], v[46:47], v[2:3], s[18:19]
	s_mov_b32 s18, 0x2a6ec53b
	v_mov_b32_e32 v2, 0x690fd1e2
	v_mov_b32_e32 v3, 0xbe36fd7c
	s_mov_b32 s19, 0x3e07e9c4
	v_fma_f64 v[2:3], v[46:47], s[18:19], v[2:3]
	s_mov_b32 s18, 0x2e3bd51f
	s_mov_b32 s19, 0xbe721b45
	v_fma_f64 v[2:3], v[46:47], v[2:3], s[18:19]
	s_mov_b32 s18, 0xbfaf5e9e
	;; [unrolled: 3-line block ×8, first 2 shown]
	v_mov_b32_e32 v2, 0x1423d8c5
	v_mov_b32_e32 v3, 0x3e2f03c0
	s_mov_b32 s19, 0xbdf35823
	v_fma_f64 v[2:3], v[46:47], s[18:19], v[2:3]
	s_mov_b32 s18, 0xf792de63
	s_mov_b32 s19, 0x3e685aaa
	v_fma_f64 v[2:3], v[46:47], v[2:3], s[18:19]
	s_mov_b32 s18, 0x660cbe45
	;; [unrolled: 3-line block ×9, first 2 shown]
	v_mov_b32_e32 v2, 0xd9876fd2
	v_mov_b32_e32 v3, 0x3e1e9b6d
	s_mov_b32 s19, 0xbde458d7
	v_fma_f64 v[2:3], v[46:47], s[18:19], v[2:3]
	s_mov_b32 s18, 0xdcd5a1c0
	s_mov_b32 s19, 0xbe54abc9
	v_add_f64 v[48:49], v[41:42], 1.0
	v_fma_f64 v[2:3], v[46:47], v[2:3], s[18:19]
	s_mov_b32 s18, 0x7a80ab49
	s_mov_b32 s19, 0x3e89e0b7
	v_fma_f64 v[2:3], v[46:47], v[2:3], s[18:19]
	s_mov_b32 s18, 0x48445f5a
	s_mov_b32 s19, 0xbebd28ef
	;; [unrolled: 3-line block ×10, first 2 shown]
	v_mul_f64 v[2:3], v[50:51], s[18:19]
	s_mov_b32 s18, 0xfefa39ef
	s_mov_b32 s19, 0xbfe62e42
	v_rndne_f64_e32 v[44:45], v[2:3]
	v_fma_f64 v[2:3], v[44:45], s[18:19], -v[50:51]
	s_mov_b32 s18, 0x3b39803f
	s_mov_b32 s19, 0xbc7abc9e
	v_cvt_i32_f64_e32 v11, v[44:45]
	v_fma_f64 v[46:47], v[44:45], s[18:19], v[2:3]
	s_mov_b32 s18, 0x6a5dcb37
	v_mov_b32_e32 v2, 0xfca7ab0c
	v_mov_b32_e32 v3, 0x3e928af3
	s_mov_b32 s19, 0x3e5ade15
	v_fma_f64 v[2:3], v[46:47], s[18:19], v[2:3]
	s_mov_b32 s18, 0x623fde64
	s_mov_b32 s19, 0x3ec71dee
	v_fma_f64 v[2:3], v[46:47], v[2:3], s[18:19]
	s_mov_b32 s18, 0x7c89e6b0
	;; [unrolled: 3-line block ×9, first 2 shown]
	s_mov_b32 s19, 0x4090cc00
	v_cmp_nlt_f64_e32 vcc, s[18:19], v[50:51]
	s_mov_b32 s18, 0
	s_mov_b32 s19, 0x40080000
	v_fma_f64 v[2:3], v[46:47], v[2:3], 1.0
	v_fma_f64 v[2:3], v[46:47], v[2:3], 1.0
	v_ldexp_f64 v[2:3], v[2:3], v11
	v_cndmask_b32_e32 v3, 0, v3, vcc
	v_cndmask_b32_e32 v2, 0, v2, vcc
	v_fma_f64 v[30:31], v[16:17], v[54:55], v[2:3]
	v_div_scale_f64 v[32:33], s[20:21], s[18:19], s[18:19], v[30:31]
	v_rcp_f64_e32 v[34:35], v[32:33]
	v_fma_f64 v[36:37], -v[32:33], v[34:35], 1.0
	v_fma_f64 v[34:35], v[34:35], v[36:37], v[34:35]
	v_fma_f64 v[36:37], -v[32:33], v[34:35], 1.0
	v_fma_f64 v[34:35], v[34:35], v[36:37], v[34:35]
	v_div_scale_f64 v[36:37], vcc, v[30:31], s[18:19], v[30:31]
	v_mul_f64 v[38:39], v[36:37], v[34:35]
	v_fma_f64 v[32:33], -v[32:33], v[38:39], v[36:37]
	s_nop 1
	v_div_fmas_f64 v[32:33], v[32:33], v[34:35], v[38:39]
	v_div_fixup_f64 v[44:45], v[32:33], s[18:19], v[30:31]
	v_fma_f64 v[50:51], v[16:17], v[44:45], v[2:3]
	v_add_f64 v[2:3], v[52:53], 1.0
	v_div_scale_f64 v[16:17], s[18:19], v[2:3], v[2:3], v[52:53]
	v_rcp_f64_e32 v[30:31], v[16:17]
	v_fma_f64 v[32:33], -v[16:17], v[30:31], 1.0
	v_fma_f64 v[30:31], v[30:31], v[32:33], v[30:31]
	v_fma_f64 v[32:33], -v[16:17], v[30:31], 1.0
	v_fma_f64 v[30:31], v[30:31], v[32:33], v[30:31]
	v_div_scale_f64 v[32:33], vcc, v[52:53], v[2:3], v[52:53]
	v_mul_f64 v[34:35], v[32:33], v[30:31]
	v_fma_f64 v[16:17], -v[16:17], v[34:35], v[32:33]
	s_nop 1
	v_div_fmas_f64 v[16:17], v[16:17], v[30:31], v[34:35]
	v_div_fixup_f64 v[46:47], v[16:17], v[2:3], v[52:53]
	v_add_f64 v[2:3], v[58:59], 1.0
	v_div_scale_f64 v[16:17], s[18:19], v[2:3], v[2:3], v[58:59]
	v_rcp_f64_e32 v[30:31], v[16:17]
	v_fma_f64 v[32:33], -v[16:17], v[30:31], 1.0
	v_fma_f64 v[30:31], v[30:31], v[32:33], v[30:31]
	v_fma_f64 v[32:33], -v[16:17], v[30:31], 1.0
	v_fma_f64 v[30:31], v[30:31], v[32:33], v[30:31]
	v_div_scale_f64 v[32:33], vcc, v[58:59], v[2:3], v[58:59]
	v_mul_f64 v[34:35], v[32:33], v[30:31]
	v_fma_f64 v[16:17], -v[16:17], v[34:35], v[32:33]
	s_nop 1
	v_div_fmas_f64 v[16:17], v[16:17], v[30:31], v[34:35]
	v_div_fixup_f64 v[56:57], v[16:17], v[2:3], v[58:59]
	v_div_scale_f64 v[2:3], s[18:19], v[48:49], v[48:49], v[41:42]
	v_rcp_f64_e32 v[16:17], v[2:3]
	v_fma_f64 v[30:31], -v[2:3], v[16:17], 1.0
	v_fma_f64 v[16:17], v[16:17], v[30:31], v[16:17]
	v_fma_f64 v[30:31], -v[2:3], v[16:17], 1.0
	v_fma_f64 v[16:17], v[16:17], v[30:31], v[16:17]
	v_div_scale_f64 v[30:31], vcc, v[41:42], v[48:49], v[41:42]
	v_mul_f64 v[32:33], v[30:31], v[16:17]
	v_fma_f64 v[2:3], -v[2:3], v[32:33], v[30:31]
	v_fma_f64 v[30:31], -v[46:47], v[50:51], v[44:45]
	s_nop 0
	v_div_fmas_f64 v[2:3], v[2:3], v[16:17], v[32:33]
	v_fma_f64 v[16:17], -v[46:47], v[44:45], v[54:55]
	v_fma_f64 v[32:33], -v[56:57], v[30:31], v[16:17]
	v_div_fixup_f64 v[2:3], v[2:3], v[48:49], v[41:42]
	v_add_f64 v[34:35], v[2:3], -v[56:57]
	v_add_f64 v[36:37], v[2:3], -v[46:47]
	v_fma_f64 v[2:3], v[2:3], v[30:31], -v[16:17]
	v_add_f64 v[16:17], v[56:57], -v[46:47]
	v_mul_f64 v[36:37], v[34:35], v[36:37]
	v_mul_f64 v[16:17], v[34:35], v[16:17]
	v_div_scale_f64 v[38:39], s[18:19], v[36:37], v[36:37], v[32:33]
	v_div_scale_f64 v[30:31], s[18:19], v[16:17], v[16:17], v[2:3]
	v_rcp_f64_e32 v[48:49], v[38:39]
	v_fma_f64 v[54:55], -v[38:39], v[48:49], 1.0
	v_fma_f64 v[48:49], v[48:49], v[54:55], v[48:49]
	v_fma_f64 v[54:55], -v[38:39], v[48:49], 1.0
	v_fma_f64 v[48:49], v[48:49], v[54:55], v[48:49]
	v_div_scale_f64 v[54:55], vcc, v[32:33], v[36:37], v[32:33]
	v_mul_f64 v[43:44], v[54:55], v[48:49]
	v_fma_f64 v[38:39], -v[38:39], v[43:44], v[54:55]
	s_nop 1
	v_div_fmas_f64 v[38:39], v[38:39], v[48:49], v[43:44]
	v_div_fixup_f64 v[44:45], v[38:39], v[36:37], v[32:33]
	v_rcp_f64_e32 v[32:33], v[30:31]
	v_fma_f64 v[34:35], -v[30:31], v[32:33], 1.0
	v_fma_f64 v[32:33], v[32:33], v[34:35], v[32:33]
	v_fma_f64 v[34:35], -v[30:31], v[32:33], 1.0
	v_fma_f64 v[32:33], v[32:33], v[34:35], v[32:33]
	v_div_scale_f64 v[34:35], vcc, v[2:3], v[16:17], v[2:3]
	v_mul_f64 v[36:37], v[34:35], v[32:33]
	v_fma_f64 v[30:31], -v[30:31], v[36:37], v[34:35]
	s_nop 1
	v_div_fmas_f64 v[30:31], v[30:31], v[32:33], v[36:37]
	v_div_fixup_f64 v[56:57], v[30:31], v[16:17], v[2:3]
	v_add_f64 v[2:3], v[50:51], -v[56:57]
	v_add_f64 v[54:55], v[2:3], -v[44:45]
.LBB0_179:
	s_or_b64 exec, exec, s[16:17]
                                        ; implicit-def: $vgpr46_vgpr47
                                        ; implicit-def: $vgpr50_vgpr51
.LBB0_180:
	s_andn2_saveexec_b64 s[14:15], s[14:15]
	s_cbranch_execz .LBB0_182
; %bb.181:
	s_mov_b32 s16, 0x2e6d26f8
	v_mov_b32_e32 v2, 0xa9d197ff
	v_mov_b32_e32 v3, 0x3e20dad1
	s_mov_b32 s17, 0xbde63969
	v_fma_f64 v[2:3], v[46:47], s[16:17], v[2:3]
	s_mov_b32 s16, 0xc75966b
	s_mov_b32 s17, 0xbe5700d5
	v_mov_b32_e32 v16, 0xfca7ab0c
	v_mov_b32_e32 v17, 0x3e928af3
	v_add_f64 v[52:53], v[50:51], v[50:51]
	v_mov_b32_e32 v44, 0
	v_mov_b32_e32 v45, 0
	v_fma_f64 v[2:3], v[46:47], v[2:3], s[16:17]
	s_mov_b32 s16, 0x9166491
	s_mov_b32 s17, 0x3e8d2781
	v_fma_f64 v[2:3], v[46:47], v[2:3], s[16:17]
	s_mov_b32 s16, 0x60b81f04
	s_mov_b32 s17, 0xbec0ae46
	;; [unrolled: 3-line block ×10, first 2 shown]
	v_mul_f64 v[2:3], v[50:51], s[16:17]
	s_mov_b32 s16, 0xfefa39ef
	s_mov_b32 s17, 0xbfe62e42
	v_rndne_f64_e32 v[41:42], v[2:3]
	v_fma_f64 v[2:3], v[41:42], s[16:17], -v[50:51]
	s_mov_b32 s16, 0x3b39803f
	s_mov_b32 s17, 0xbc7abc9e
	v_cvt_i32_f64_e32 v11, v[41:42]
	v_fma_f64 v[2:3], v[41:42], s[16:17], v[2:3]
	s_mov_b32 s16, 0x6a5dcb37
	s_mov_b32 s17, 0x3e5ade15
	v_mov_b32_e32 v41, 0
	v_mov_b32_e32 v42, 0
	v_fma_f64 v[16:17], v[2:3], s[16:17], v[16:17]
	s_mov_b32 s16, 0x623fde64
	s_mov_b32 s17, 0x3ec71dee
	v_fma_f64 v[16:17], v[2:3], v[16:17], s[16:17]
	s_mov_b32 s16, 0x7c89e6b0
	s_mov_b32 s17, 0x3efa0199
	v_fma_f64 v[16:17], v[2:3], v[16:17], s[16:17]
	s_mov_b32 s16, 0x14761f6e
	s_mov_b32 s17, 0x3f2a01a0
	v_fma_f64 v[16:17], v[2:3], v[16:17], s[16:17]
	s_mov_b32 s16, 0x1852b7b0
	s_mov_b32 s17, 0x3f56c16c
	v_fma_f64 v[16:17], v[2:3], v[16:17], s[16:17]
	s_mov_b32 s16, 0x11122322
	s_mov_b32 s17, 0x3f811111
	v_fma_f64 v[16:17], v[2:3], v[16:17], s[16:17]
	s_mov_b32 s16, 0x555502a1
	s_mov_b32 s17, 0x3fa55555
	v_fma_f64 v[16:17], v[2:3], v[16:17], s[16:17]
	s_mov_b32 s16, 0x55555511
	s_mov_b32 s17, 0x3fc55555
	v_fma_f64 v[16:17], v[2:3], v[16:17], s[16:17]
	s_mov_b32 s16, 11
	s_mov_b32 s17, 0x3fe00000
	v_fma_f64 v[16:17], v[2:3], v[16:17], s[16:17]
	s_mov_b32 s16, 0
	s_mov_b32 s17, 0x4090cc00
	v_cmp_nlt_f64_e32 vcc, s[16:17], v[50:51]
	s_mov_b32 s16, 0xed19fefa
	s_mov_b32 s17, 0xbd9c0266
	v_fma_f64 v[16:17], v[2:3], v[16:17], 1.0
	v_fma_f64 v[2:3], v[2:3], v[16:17], 1.0
	v_ldexp_f64 v[2:3], v[2:3], v11
	v_cndmask_b32_e32 v3, 0, v3, vcc
	v_cndmask_b32_e32 v2, 0, v2, vcc
	v_fma_f64 v[50:51], v[52:53], v[54:55], v[2:3]
	v_mov_b32_e32 v2, 0xdef0c7e3
	v_mov_b32_e32 v3, 0x3dd74b2a
	v_fma_f64 v[2:3], v[46:47], s[16:17], v[2:3]
	s_mov_b32 s16, 0x1125f910
	s_mov_b32 s17, 0xbe01b3ee
	v_fma_f64 v[2:3], v[46:47], v[2:3], s[16:17]
	s_mov_b32 s16, 0xfe46
	s_mov_b32 s17, 0xbdfa6ea4
	;; [unrolled: 3-line block ×9, first 2 shown]
	v_fma_f64 v[52:53], v[46:47], v[2:3], s[16:17]
	s_mov_b32 s16, 0x6e8b0aa0
	v_mov_b32_e32 v2, 0xe5bda7a1
	v_mov_b32_e32 v3, 0x3e21ca6d
	s_mov_b32 s17, 0x3de3f964
	v_fma_f64 v[2:3], v[46:47], s[16:17], v[2:3]
	s_mov_b32 s16, 0xdbd3a56
	s_mov_b32 s17, 0xbe542cbd
	v_fma_f64 v[2:3], v[46:47], v[2:3], s[16:17]
	s_mov_b32 s16, 0x9cefcdd4
	s_mov_b32 s17, 0xbe8729ef
	v_fma_f64 v[2:3], v[46:47], v[2:3], s[16:17]
	s_mov_b32 s16, 0x859e5a97
	s_mov_b32 s17, 0x3ec2da3b
	v_fma_f64 v[2:3], v[46:47], v[2:3], s[16:17]
	s_mov_b32 s16, 0x734c6742
	s_mov_b32 s17, 0x3ee47c11
	v_fma_f64 v[2:3], v[46:47], v[2:3], s[16:17]
	s_mov_b32 s16, 0x579331c5
	s_mov_b32 s17, 0xbf295166
	v_fma_f64 v[2:3], v[46:47], v[2:3], s[16:17]
	s_mov_b32 s16, 0xc9820700
	s_mov_b32 s17, 0xbf59e5b0
	v_fma_f64 v[2:3], v[46:47], v[2:3], s[16:17]
	s_mov_b32 s16, 0x638b14c6
	s_mov_b32 s17, 0x3fa8e128
	v_fma_f64 v[2:3], v[46:47], v[2:3], s[16:17]
	s_mov_b32 s16, 0x9fc04e6
	s_mov_b32 s17, 0xbfdb9199
	v_fma_f64 v[2:3], v[46:47], v[2:3], s[16:17]
	s_mov_b32 s16, 0x52a11fb4
	s_mov_b32 s17, 0x3ffcdd39
	v_fma_f64 v[58:59], v[46:47], v[2:3], s[16:17]
	v_add_f64 v[2:3], v[54:55], -v[50:51]
	v_add_f64 v[16:17], v[58:59], 1.0
	v_fma_f64 v[2:3], v[52:53], v[2:3], v[54:55]
	v_mul_f64 v[2:3], v[16:17], v[2:3]
	v_add_f64 v[16:17], v[58:59], -v[52:53]
	v_div_scale_f64 v[30:31], s[16:17], v[16:17], v[16:17], v[2:3]
	v_rcp_f64_e32 v[32:33], v[30:31]
	v_fma_f64 v[34:35], -v[30:31], v[32:33], 1.0
	v_fma_f64 v[32:33], v[32:33], v[34:35], v[32:33]
	v_fma_f64 v[34:35], -v[30:31], v[32:33], 1.0
	v_fma_f64 v[32:33], v[32:33], v[34:35], v[32:33]
	v_div_scale_f64 v[34:35], vcc, v[2:3], v[16:17], v[2:3]
	v_mul_f64 v[36:37], v[34:35], v[32:33]
	v_fma_f64 v[30:31], -v[30:31], v[36:37], v[34:35]
	s_nop 1
	v_div_fmas_f64 v[30:31], v[30:31], v[32:33], v[36:37]
	v_div_fixup_f64 v[56:57], v[30:31], v[16:17], v[2:3]
	v_add_f64 v[54:55], v[50:51], -v[56:57]
.LBB0_182:
	s_or_b64 exec, exec, s[14:15]
                                        ; implicit-def: $vgpr46_vgpr47
                                        ; implicit-def: $vgpr50_vgpr51
.LBB0_183:
	s_andn2_saveexec_b64 s[12:13], s[12:13]
	s_cbranch_execz .LBB0_187
; %bb.184:
	buffer_load_dword v2, off, s[0:3], s33 offset:828 ; 4-byte Folded Reload
	v_mov_b32_e32 v44, 0
	v_mov_b32_e32 v54, 0
	v_mov_b32_e32 v52, 0
	v_mov_b32_e32 v45, 0
	v_mov_b32_e32 v55, 0
	v_mov_b32_e32 v53, 0
	s_waitcnt vmcnt(0)
	v_cmp_eq_u32_e32 vcc, 0, v2
	s_and_saveexec_b64 s[14:15], vcc
	s_cbranch_execz .LBB0_186
; %bb.185:
	s_mov_b32 s16, 0x2e6d26f8
	v_mov_b32_e32 v2, 0xa9d197ff
	v_mov_b32_e32 v3, 0x3e20dad1
	s_mov_b32 s17, 0xbde63969
	v_fma_f64 v[2:3], v[46:47], s[16:17], v[2:3]
	s_mov_b32 s16, 0xc75966b
	s_mov_b32 s17, 0xbe5700d5
	v_add_f64 v[54:55], v[50:51], v[50:51]
	v_fma_f64 v[2:3], v[46:47], v[2:3], s[16:17]
	s_mov_b32 s16, 0x9166491
	s_mov_b32 s17, 0x3e8d2781
	v_fma_f64 v[2:3], v[46:47], v[2:3], s[16:17]
	s_mov_b32 s16, 0x60b81f04
	s_mov_b32 s17, 0xbec0ae46
	;; [unrolled: 3-line block ×10, first 2 shown]
	v_mul_f64 v[2:3], v[50:51], s[16:17]
	s_mov_b32 s16, 0xfefa39ef
	s_mov_b32 s17, 0xbfe62e42
	v_rndne_f64_e32 v[41:42], v[2:3]
	v_fma_f64 v[2:3], v[41:42], s[16:17], -v[50:51]
	s_mov_b32 s16, 0x3b39803f
	s_mov_b32 s17, 0xbc7abc9e
	v_cvt_i32_f64_e32 v11, v[41:42]
	v_fma_f64 v[46:47], v[41:42], s[16:17], v[2:3]
	s_mov_b32 s16, 0x6a5dcb37
	v_mov_b32_e32 v2, 0xfca7ab0c
	v_mov_b32_e32 v3, 0x3e928af3
	s_mov_b32 s17, 0x3e5ade15
	v_fma_f64 v[2:3], v[46:47], s[16:17], v[2:3]
	s_mov_b32 s16, 0x623fde64
	s_mov_b32 s17, 0x3ec71dee
	v_fma_f64 v[2:3], v[46:47], v[2:3], s[16:17]
	s_mov_b32 s16, 0x7c89e6b0
	;; [unrolled: 3-line block ×9, first 2 shown]
	s_mov_b32 s17, 0x4090cc00
	v_cmp_nlt_f64_e32 vcc, s[16:17], v[50:51]
	v_fma_f64 v[2:3], v[46:47], v[2:3], 1.0
	v_fma_f64 v[2:3], v[46:47], v[2:3], 1.0
	v_ldexp_f64 v[2:3], v[2:3], v11
	v_cndmask_b32_e32 v3, 0, v3, vcc
	v_cndmask_b32_e32 v2, 0, v2, vcc
	v_fma_f64 v[54:55], v[54:55], v[52:53], v[2:3]
	v_add_f64 v[2:3], v[54:55], -v[52:53]
	v_div_scale_f64 v[16:17], s[16:17], v[2:3], v[2:3], v[52:53]
	v_rcp_f64_e32 v[30:31], v[16:17]
	v_fma_f64 v[32:33], -v[16:17], v[30:31], 1.0
	v_fma_f64 v[30:31], v[30:31], v[32:33], v[30:31]
	v_fma_f64 v[32:33], -v[16:17], v[30:31], 1.0
	v_fma_f64 v[30:31], v[30:31], v[32:33], v[30:31]
	v_div_scale_f64 v[32:33], vcc, v[52:53], v[2:3], v[52:53]
	v_mul_f64 v[34:35], v[32:33], v[30:31]
	v_fma_f64 v[16:17], -v[16:17], v[34:35], v[32:33]
	s_nop 1
	v_div_fmas_f64 v[16:17], v[16:17], v[30:31], v[34:35]
	v_div_fixup_f64 v[52:53], v[16:17], v[2:3], v[52:53]
.LBB0_186:
	s_or_b64 exec, exec, s[14:15]
	v_mov_b32_e32 v56, 0
	v_mov_b32_e32 v41, 0
	;; [unrolled: 1-line block ×6, first 2 shown]
.LBB0_187:
	s_or_b64 exec, exec, s[12:13]
	s_or_b64 exec, exec, s[10:11]
                                        ; implicit-def: $vgpr50_vgpr51
.LBB0_188:
	s_andn2_saveexec_b64 s[8:9], s[8:9]
	s_cbranch_execz .LBB0_300
.LBB0_189:
	buffer_load_dword v2, off, s[0:3], s33 offset:828 ; 4-byte Folded Reload
                                        ; implicit-def: $vgpr44_vgpr45
                                        ; implicit-def: $vgpr56_vgpr57
                                        ; implicit-def: $vgpr54_vgpr55
                                        ; implicit-def: $vgpr41_vgpr42
                                        ; implicit-def: $vgpr58_vgpr59
                                        ; implicit-def: $vgpr52_vgpr53
	s_waitcnt vmcnt(0)
	v_cmp_lt_i32_e32 vcc, 0, v2
	s_and_saveexec_b64 s[10:11], vcc
	s_xor_b64 s[10:11], exec, s[10:11]
	s_cbranch_execz .LBB0_197
; %bb.190:
	buffer_load_dword v2, off, s[0:3], s33 offset:828 ; 4-byte Folded Reload
                                        ; implicit-def: $vgpr44_vgpr45
                                        ; implicit-def: $vgpr56_vgpr57
                                        ; implicit-def: $vgpr54_vgpr55
                                        ; implicit-def: $vgpr41_vgpr42
                                        ; implicit-def: $vgpr58_vgpr59
                                        ; implicit-def: $vgpr52_vgpr53
	s_waitcnt vmcnt(0)
	v_cmp_lt_i32_e32 vcc, 1, v2
	s_and_saveexec_b64 s[12:13], vcc
	s_xor_b64 s[12:13], exec, s[12:13]
	s_cbranch_execz .LBB0_194
; %bb.191:
	buffer_load_dword v2, off, s[0:3], s33 offset:828 ; 4-byte Folded Reload
	v_mov_b32_e32 v44, 0
	v_mov_b32_e32 v56, 0
	;; [unrolled: 1-line block ×12, first 2 shown]
	s_waitcnt vmcnt(0)
	v_cmp_eq_u32_e32 vcc, 2, v2
	s_and_saveexec_b64 s[14:15], vcc
	s_cbranch_execz .LBB0_193
; %bb.192:
	s_mov_b32 s16, 0x4c050a83
	v_mov_b32_e32 v48, 0xba084876
	v_mov_b32_e32 v49, 0x3e59c8c3
	s_mov_b32 s17, 0xbe0187a6
	v_fma_f64 v[48:49], v[50:51], s[16:17], v[48:49]
	s_mov_b32 s16, 0xe61e163f
	s_mov_b32 s17, 0xbea0d040
	v_fma_f64 v[48:49], v[50:51], v[48:49], s[16:17]
	s_mov_b32 s16, 0x36d0827f
	s_mov_b32 s17, 0x3edfce17
	v_fma_f64 v[48:49], v[50:51], v[48:49], s[16:17]
	s_mov_b32 s16, 0x73eaaebc
	s_mov_b32 s17, 0xbf190978
	v_fma_f64 v[48:49], v[50:51], v[48:49], s[16:17]
	s_mov_b32 s16, 0x98dcd03d
	s_mov_b32 s17, 0x3f50dba5
	v_fma_f64 v[48:49], v[50:51], v[48:49], s[16:17]
	s_mov_b32 s16, 0xf2671cbe
	s_mov_b32 s17, 0xbf8305fb
	v_fma_f64 v[48:49], v[50:51], v[48:49], s[16:17]
	s_mov_b32 s16, 0x69e53f1a
	s_mov_b32 s17, 0x3faee9b9
	v_fma_f64 v[52:53], v[50:51], v[48:49], s[16:17]
	s_mov_b32 s16, 0xa133a864
	v_mov_b32_e32 v48, 0xc3c042fd
	v_mov_b32_e32 v49, 0x3e74cb06
	s_mov_b32 s17, 0xbe4bd764
	v_fma_f64 v[48:49], v[50:51], s[16:17], v[48:49]
	s_mov_b32 s16, 0xf35f5185
	s_mov_b32 s17, 0x3eba2d20
	v_fma_f64 v[48:49], v[50:51], v[48:49], s[16:17]
	s_mov_b32 s16, 0x270e6f4
	s_mov_b32 s17, 0xbef092ad
	v_fma_f64 v[48:49], v[50:51], v[48:49], s[16:17]
	s_mov_b32 s16, 0x857e0a56
	s_mov_b32 s17, 0xbf35a7fe
	v_fma_f64 v[48:49], v[50:51], v[48:49], s[16:17]
	s_mov_b32 s16, 0xe0c1e780
	s_mov_b32 s17, 0x3f83f3f6
	v_fma_f64 v[48:49], v[50:51], v[48:49], s[16:17]
	s_mov_b32 s16, 0xa6d6b89f
	s_mov_b32 s17, 0xbfbe984a
	v_fma_f64 v[48:49], v[50:51], v[48:49], s[16:17]
	s_mov_b32 s16, 0xa78fc4a5
	s_mov_b32 s17, 0x3fe8dbbc
	v_fma_f64 v[58:59], v[50:51], v[48:49], s[16:17]
	;; [unrolled: 23-line block ×4, first 2 shown]
	s_mov_b32 s16, 0x9247a43d
	s_mov_b32 s17, 0xbfc24924
	v_fma_f64 v[48:49], v[50:51], v[48:49], s[16:17]
	s_mov_b32 s16, 0x999997a1
	s_mov_b32 s17, 0x3fc99999
	v_fma_f64 v[0:1], v[50:51], v[48:49], s[16:17]
	s_mov_b32 s16, 0x652b82fe
	s_mov_b32 s17, 0xbff71547
	v_mul_f64 v[48:49], v[50:51], s[16:17]
	s_mov_b32 s16, 0xfefa39ef
	s_mov_b32 s17, 0xbfe62e42
	v_rndne_f64_e32 v[44:45], v[48:49]
	v_fma_f64 v[48:49], v[44:45], s[16:17], -v[50:51]
	s_mov_b32 s16, 0x3b39803f
	s_mov_b32 s17, 0xbc7abc9e
	v_cvt_i32_f64_e32 v2, v[44:45]
	v_fma_f64 v[46:47], v[44:45], s[16:17], v[48:49]
	s_mov_b32 s16, 0x6a5dcb37
	v_mov_b32_e32 v48, 0xfca7ab0c
	v_mov_b32_e32 v49, 0x3e928af3
	s_mov_b32 s17, 0x3e5ade15
	v_fma_f64 v[48:49], v[46:47], s[16:17], v[48:49]
	s_mov_b32 s16, 0x623fde64
	s_mov_b32 s17, 0x3ec71dee
	v_fma_f64 v[48:49], v[46:47], v[48:49], s[16:17]
	s_mov_b32 s16, 0x7c89e6b0
	;; [unrolled: 3-line block ×9, first 2 shown]
	s_mov_b32 s17, 0x4090cc00
	v_cmp_nlt_f64_e32 vcc, s[16:17], v[50:51]
	v_add_f64 v[50:51], v[50:51], v[50:51]
	s_mov_b32 s16, 0
	s_mov_b32 s17, 0x40080000
	v_fma_f64 v[48:49], v[46:47], v[48:49], 1.0
	v_fma_f64 v[48:49], v[46:47], v[48:49], 1.0
	v_ldexp_f64 v[48:49], v[48:49], v2
	v_cndmask_b32_e32 v49, 0, v49, vcc
	v_cndmask_b32_e32 v48, 0, v48, vcc
	v_fma_f64 v[43:44], v[50:51], v[0:1], v[48:49]
	v_div_scale_f64 v[45:46], s[18:19], s[16:17], s[16:17], v[43:44]
	v_rcp_f64_e32 v[56:57], v[45:46]
	v_fma_f64 v[54:55], -v[45:46], v[56:57], 1.0
	v_fma_f64 v[54:55], v[56:57], v[54:55], v[56:57]
	v_fma_f64 v[56:57], -v[45:46], v[54:55], 1.0
	v_fma_f64 v[54:55], v[54:55], v[56:57], v[54:55]
	v_div_scale_f64 v[56:57], vcc, v[43:44], s[16:17], v[43:44]
	v_mul_f64 v[30:31], v[56:57], v[54:55]
	v_fma_f64 v[45:46], -v[45:46], v[30:31], v[56:57]
	s_nop 1
	v_div_fmas_f64 v[30:31], v[45:46], v[54:55], v[30:31]
	v_div_fixup_f64 v[44:45], v[30:31], s[16:17], v[43:44]
	v_add_f64 v[30:31], v[52:53], 1.0
	v_fma_f64 v[50:51], v[50:51], v[44:45], v[48:49]
	v_div_scale_f64 v[48:49], s[16:17], v[30:31], v[30:31], v[52:53]
	v_rcp_f64_e32 v[54:55], v[48:49]
	v_fma_f64 v[46:47], -v[48:49], v[54:55], 1.0
	v_fma_f64 v[54:55], v[54:55], v[46:47], v[54:55]
	v_fma_f64 v[46:47], -v[48:49], v[54:55], 1.0
	v_fma_f64 v[54:55], v[54:55], v[46:47], v[54:55]
	v_div_scale_f64 v[46:47], vcc, v[52:53], v[30:31], v[52:53]
	v_mul_f64 v[56:57], v[46:47], v[54:55]
	v_fma_f64 v[48:49], -v[48:49], v[56:57], v[46:47]
	s_nop 1
	v_div_fmas_f64 v[48:49], v[48:49], v[54:55], v[56:57]
	v_div_fixup_f64 v[46:47], v[48:49], v[30:31], v[52:53]
	v_add_f64 v[30:31], v[58:59], 1.0
	v_div_scale_f64 v[48:49], s[16:17], v[30:31], v[30:31], v[58:59]
	v_rcp_f64_e32 v[54:55], v[48:49]
	v_fma_f64 v[56:57], -v[48:49], v[54:55], 1.0
	v_fma_f64 v[54:55], v[54:55], v[56:57], v[54:55]
	v_fma_f64 v[56:57], -v[48:49], v[54:55], 1.0
	v_fma_f64 v[54:55], v[54:55], v[56:57], v[54:55]
	v_div_scale_f64 v[56:57], vcc, v[58:59], v[30:31], v[58:59]
	v_mul_f64 v[32:33], v[56:57], v[54:55]
	v_fma_f64 v[48:49], -v[48:49], v[32:33], v[56:57]
	s_nop 1
	v_div_fmas_f64 v[32:33], v[48:49], v[54:55], v[32:33]
	v_add_f64 v[48:49], v[41:42], 1.0
	v_div_fixup_f64 v[56:57], v[32:33], v[30:31], v[58:59]
	v_div_scale_f64 v[30:31], s[16:17], v[48:49], v[48:49], v[41:42]
	v_rcp_f64_e32 v[32:33], v[30:31]
	v_fma_f64 v[54:55], -v[30:31], v[32:33], 1.0
	v_fma_f64 v[32:33], v[32:33], v[54:55], v[32:33]
	v_fma_f64 v[54:55], -v[30:31], v[32:33], 1.0
	v_fma_f64 v[32:33], v[32:33], v[54:55], v[32:33]
	v_div_scale_f64 v[54:55], vcc, v[41:42], v[48:49], v[41:42]
	v_mul_f64 v[34:35], v[54:55], v[32:33]
	v_fma_f64 v[30:31], -v[30:31], v[34:35], v[54:55]
	s_nop 1
	v_div_fmas_f64 v[30:31], v[30:31], v[32:33], v[34:35]
	v_fma_f64 v[32:33], -v[46:47], v[44:45], v[0:1]
	v_fma_f64 v[34:35], -v[46:47], v[50:51], v[44:45]
	v_div_fixup_f64 v[30:31], v[30:31], v[48:49], v[41:42]
	v_fma_f64 v[48:49], -v[56:57], v[34:35], v[32:33]
	v_add_f64 v[54:55], v[30:31], -v[56:57]
	v_add_f64 v[43:44], v[30:31], -v[46:47]
	v_mul_f64 v[43:44], v[54:55], v[43:44]
	v_div_scale_f64 v[36:37], s[16:17], v[43:44], v[43:44], v[48:49]
	v_rcp_f64_e32 v[38:39], v[36:37]
	v_fma_f64 v[16:17], -v[36:37], v[38:39], 1.0
	v_fma_f64 v[16:17], v[38:39], v[16:17], v[38:39]
	v_fma_f64 v[38:39], -v[36:37], v[16:17], 1.0
	v_fma_f64 v[16:17], v[16:17], v[38:39], v[16:17]
	v_div_scale_f64 v[38:39], vcc, v[48:49], v[43:44], v[48:49]
	v_mul_f64 v[2:3], v[38:39], v[16:17]
	v_fma_f64 v[36:37], -v[36:37], v[2:3], v[38:39]
	s_nop 1
	v_div_fmas_f64 v[2:3], v[36:37], v[16:17], v[2:3]
	v_add_f64 v[16:17], v[56:57], -v[46:47]
	v_mul_f64 v[16:17], v[54:55], v[16:17]
	v_div_fixup_f64 v[44:45], v[2:3], v[43:44], v[48:49]
	v_fma_f64 v[2:3], v[30:31], v[34:35], -v[32:33]
	v_div_scale_f64 v[30:31], s[16:17], v[16:17], v[16:17], v[2:3]
	v_rcp_f64_e32 v[32:33], v[30:31]
	v_fma_f64 v[34:35], -v[30:31], v[32:33], 1.0
	v_fma_f64 v[32:33], v[32:33], v[34:35], v[32:33]
	v_fma_f64 v[34:35], -v[30:31], v[32:33], 1.0
	v_fma_f64 v[32:33], v[32:33], v[34:35], v[32:33]
	v_div_scale_f64 v[34:35], vcc, v[2:3], v[16:17], v[2:3]
	v_mul_f64 v[36:37], v[34:35], v[32:33]
	v_fma_f64 v[30:31], -v[30:31], v[36:37], v[34:35]
	s_nop 1
	v_div_fmas_f64 v[30:31], v[30:31], v[32:33], v[36:37]
	v_div_fixup_f64 v[56:57], v[30:31], v[16:17], v[2:3]
	v_add_f64 v[2:3], v[50:51], -v[56:57]
	v_add_f64 v[54:55], v[2:3], -v[44:45]
.LBB0_193:
	s_or_b64 exec, exec, s[14:15]
                                        ; implicit-def: $vgpr50_vgpr51
.LBB0_194:
	s_andn2_saveexec_b64 s[12:13], s[12:13]
	s_cbranch_execz .LBB0_196
; %bb.195:
	s_mov_b32 s14, 0xf2e07f
	v_mov_b32_e32 v48, 0x9f017ad7
	v_mov_b32_e32 v49, 0x3eb45678
	s_mov_b32 s15, 0xbe76731b
	v_fma_f64 v[48:49], v[50:51], s[14:15], v[48:49]
	s_mov_b32 s14, 0xcb5eca91
	s_mov_b32 s15, 0xbee84196
	v_mov_b32_e32 v43, 0xfca7ab0c
	v_mov_b32_e32 v44, 0x3e928af3
	v_add_f64 v[52:53], v[50:51], v[50:51]
	v_fma_f64 v[48:49], v[50:51], v[48:49], s[14:15]
	s_mov_b32 s14, 0xfc817ba3
	s_mov_b32 s15, 0x3f1840e4
	v_fma_f64 v[48:49], v[50:51], v[48:49], s[14:15]
	s_mov_b32 s14, 0x605c6322
	s_mov_b32 s15, 0xbf45010c
	;; [unrolled: 3-line block ×8, first 2 shown]
	v_mul_f64 v[48:49], v[50:51], s[14:15]
	s_mov_b32 s14, 0xfefa39ef
	s_mov_b32 s15, 0xbfe62e42
	v_rndne_f64_e32 v[41:42], v[48:49]
	v_fma_f64 v[48:49], v[41:42], s[14:15], -v[50:51]
	s_mov_b32 s14, 0x3b39803f
	s_mov_b32 s15, 0xbc7abc9e
	v_cvt_i32_f64_e32 v2, v[41:42]
	v_fma_f64 v[48:49], v[41:42], s[14:15], v[48:49]
	s_mov_b32 s14, 0x6a5dcb37
	s_mov_b32 s15, 0x3e5ade15
	v_fma_f64 v[43:44], v[48:49], s[14:15], v[43:44]
	s_mov_b32 s14, 0x623fde64
	s_mov_b32 s15, 0x3ec71dee
	v_fma_f64 v[43:44], v[48:49], v[43:44], s[14:15]
	s_mov_b32 s14, 0x7c89e6b0
	s_mov_b32 s15, 0x3efa0199
	v_fma_f64 v[43:44], v[48:49], v[43:44], s[14:15]
	s_mov_b32 s14, 0x14761f6e
	s_mov_b32 s15, 0x3f2a01a0
	v_fma_f64 v[43:44], v[48:49], v[43:44], s[14:15]
	s_mov_b32 s14, 0x1852b7b0
	s_mov_b32 s15, 0x3f56c16c
	v_fma_f64 v[43:44], v[48:49], v[43:44], s[14:15]
	s_mov_b32 s14, 0x11122322
	s_mov_b32 s15, 0x3f811111
	v_fma_f64 v[43:44], v[48:49], v[43:44], s[14:15]
	s_mov_b32 s14, 0x555502a1
	s_mov_b32 s15, 0x3fa55555
	v_fma_f64 v[43:44], v[48:49], v[43:44], s[14:15]
	s_mov_b32 s14, 0x55555511
	s_mov_b32 s15, 0x3fc55555
	v_fma_f64 v[43:44], v[48:49], v[43:44], s[14:15]
	s_mov_b32 s14, 11
	s_mov_b32 s15, 0x3fe00000
	v_fma_f64 v[43:44], v[48:49], v[43:44], s[14:15]
	s_mov_b32 s14, 0
	s_mov_b32 s15, 0x4090cc00
	v_cmp_nlt_f64_e32 vcc, s[14:15], v[50:51]
	s_mov_b32 s14, 0xb5854706
	s_mov_b32 s15, 0xbe2434db
	v_fma_f64 v[43:44], v[48:49], v[43:44], 1.0
	v_fma_f64 v[48:49], v[48:49], v[43:44], 1.0
	v_ldexp_f64 v[48:49], v[48:49], v2
	v_cndmask_b32_e32 v49, 0, v49, vcc
	v_cndmask_b32_e32 v48, 0, v48, vcc
	v_fma_f64 v[41:42], v[52:53], v[54:55], v[48:49]
	v_mov_b32_e32 v48, 0xaf9e55b8
	v_mov_b32_e32 v49, 0x3e5ac13b
	v_fma_f64 v[48:49], v[50:51], s[14:15], v[48:49]
	s_mov_b32 s14, 0xa38c1acd
	s_mov_b32 s15, 0xbe6878e6
	v_fma_f64 v[48:49], v[50:51], v[48:49], s[14:15]
	s_mov_b32 s14, 0x1c6c69c7
	s_mov_b32 s15, 0xbec4876f
	;; [unrolled: 3-line block ×7, first 2 shown]
	v_fma_f64 v[52:53], v[50:51], v[48:49], s[14:15]
	s_mov_b32 s14, 0x3a602ec4
	v_mov_b32_e32 v48, 0xa614b3
	v_mov_b32_e32 v49, 0x3e8fc8ba
	s_mov_b32 s15, 0xbe5a909d
	v_fma_f64 v[48:49], v[50:51], s[14:15], v[48:49]
	s_mov_b32 s14, 0x2ad55635
	s_mov_b32 s15, 0x3ebecad8
	v_fma_f64 v[48:49], v[50:51], v[48:49], s[14:15]
	s_mov_b32 s14, 0x63a723e3
	;; [unrolled: 3-line block ×7, first 2 shown]
	s_mov_b32 s15, 0x4006f456
	v_fma_f64 v[58:59], v[50:51], v[48:49], s[14:15]
	v_add_f64 v[48:49], v[54:55], -v[41:42]
	v_add_f64 v[50:51], v[58:59], 1.0
	v_fma_f64 v[48:49], v[52:53], v[48:49], v[54:55]
	v_mul_f64 v[48:49], v[50:51], v[48:49]
	v_add_f64 v[50:51], v[58:59], -v[52:53]
	v_div_scale_f64 v[54:55], s[14:15], v[50:51], v[50:51], v[48:49]
	v_rcp_f64_e32 v[43:44], v[54:55]
	v_fma_f64 v[45:46], -v[54:55], v[43:44], 1.0
	v_fma_f64 v[43:44], v[43:44], v[45:46], v[43:44]
	v_fma_f64 v[45:46], -v[54:55], v[43:44], 1.0
	v_fma_f64 v[43:44], v[43:44], v[45:46], v[43:44]
	v_div_scale_f64 v[45:46], vcc, v[48:49], v[50:51], v[48:49]
	v_mul_f64 v[56:57], v[45:46], v[43:44]
	v_fma_f64 v[54:55], -v[54:55], v[56:57], v[45:46]
	s_nop 1
	v_div_fmas_f64 v[54:55], v[54:55], v[43:44], v[56:57]
	v_mov_b32_e32 v44, 0
	v_mov_b32_e32 v45, 0
	v_div_fixup_f64 v[56:57], v[54:55], v[50:51], v[48:49]
	v_add_f64 v[54:55], v[41:42], -v[56:57]
	v_mov_b32_e32 v41, 0
	v_mov_b32_e32 v42, 0
.LBB0_196:
	s_or_b64 exec, exec, s[12:13]
                                        ; implicit-def: $vgpr50_vgpr51
.LBB0_197:
	s_andn2_saveexec_b64 s[10:11], s[10:11]
	s_cbranch_execz .LBB0_201
; %bb.198:
	buffer_load_dword v2, off, s[0:3], s33 offset:828 ; 4-byte Folded Reload
	v_mov_b32_e32 v44, 0
	v_mov_b32_e32 v54, 0
	;; [unrolled: 1-line block ×6, first 2 shown]
	s_waitcnt vmcnt(0)
	v_cmp_eq_u32_e32 vcc, 0, v2
	s_and_saveexec_b64 s[12:13], vcc
	s_cbranch_execz .LBB0_200
; %bb.199:
	s_mov_b32 s14, 0xf2e07f
	v_mov_b32_e32 v48, 0x9f017ad7
	v_mov_b32_e32 v49, 0x3eb45678
	s_mov_b32 s15, 0xbe76731b
	v_fma_f64 v[48:49], v[50:51], s[14:15], v[48:49]
	s_mov_b32 s14, 0xcb5eca91
	s_mov_b32 s15, 0xbee84196
	v_add_f64 v[54:55], v[50:51], v[50:51]
	v_fma_f64 v[48:49], v[50:51], v[48:49], s[14:15]
	s_mov_b32 s14, 0xfc817ba3
	s_mov_b32 s15, 0x3f1840e4
	v_fma_f64 v[48:49], v[50:51], v[48:49], s[14:15]
	s_mov_b32 s14, 0x605c6322
	s_mov_b32 s15, 0xbf45010c
	;; [unrolled: 3-line block ×8, first 2 shown]
	v_mul_f64 v[48:49], v[50:51], s[14:15]
	s_mov_b32 s14, 0xfefa39ef
	s_mov_b32 s15, 0xbfe62e42
	v_rndne_f64_e32 v[41:42], v[48:49]
	v_fma_f64 v[48:49], v[41:42], s[14:15], -v[50:51]
	s_mov_b32 s14, 0x3b39803f
	s_mov_b32 s15, 0xbc7abc9e
	v_cvt_i32_f64_e32 v2, v[41:42]
	v_fma_f64 v[46:47], v[41:42], s[14:15], v[48:49]
	s_mov_b32 s14, 0x6a5dcb37
	v_mov_b32_e32 v48, 0xfca7ab0c
	v_mov_b32_e32 v49, 0x3e928af3
	s_mov_b32 s15, 0x3e5ade15
	v_fma_f64 v[48:49], v[46:47], s[14:15], v[48:49]
	s_mov_b32 s14, 0x623fde64
	s_mov_b32 s15, 0x3ec71dee
	v_fma_f64 v[48:49], v[46:47], v[48:49], s[14:15]
	s_mov_b32 s14, 0x7c89e6b0
	;; [unrolled: 3-line block ×9, first 2 shown]
	s_mov_b32 s15, 0x4090cc00
	v_cmp_nlt_f64_e32 vcc, s[14:15], v[50:51]
	v_fma_f64 v[48:49], v[46:47], v[48:49], 1.0
	v_fma_f64 v[48:49], v[46:47], v[48:49], 1.0
	v_ldexp_f64 v[48:49], v[48:49], v2
	v_cndmask_b32_e32 v49, 0, v49, vcc
	v_cndmask_b32_e32 v48, 0, v48, vcc
	v_fma_f64 v[54:55], v[54:55], v[52:53], v[48:49]
	v_add_f64 v[48:49], v[54:55], -v[52:53]
	v_div_scale_f64 v[50:51], s[14:15], v[48:49], v[48:49], v[52:53]
	v_rcp_f64_e32 v[40:41], v[50:51]
	v_fma_f64 v[42:43], -v[50:51], v[40:41], 1.0
	v_fma_f64 v[40:41], v[40:41], v[42:43], v[40:41]
	v_fma_f64 v[42:43], -v[50:51], v[40:41], 1.0
	v_fma_f64 v[40:41], v[40:41], v[42:43], v[40:41]
	v_div_scale_f64 v[42:43], vcc, v[52:53], v[48:49], v[52:53]
	v_mul_f64 v[46:47], v[42:43], v[40:41]
	v_fma_f64 v[50:51], -v[50:51], v[46:47], v[42:43]
	s_nop 1
	v_div_fmas_f64 v[50:51], v[50:51], v[40:41], v[46:47]
	buffer_load_dword v40, off, s[0:3], s33 offset:716 ; 4-byte Folded Reload
	v_div_fixup_f64 v[52:53], v[50:51], v[48:49], v[52:53]
.LBB0_200:
	s_or_b64 exec, exec, s[12:13]
	v_mov_b32_e32 v56, 0
	v_mov_b32_e32 v41, 0
	;; [unrolled: 1-line block ×6, first 2 shown]
.LBB0_201:
	s_or_b64 exec, exec, s[10:11]
	s_or_b64 exec, exec, s[8:9]
                                        ; implicit-def: $vgpr50_vgpr51
.LBB0_202:
	s_andn2_saveexec_b64 s[6:7], s[6:7]
	s_cbranch_execz .LBB0_216
.LBB0_203:
	buffer_load_dword v2, off, s[0:3], s33 offset:828 ; 4-byte Folded Reload
                                        ; implicit-def: $vgpr44_vgpr45
                                        ; implicit-def: $vgpr56_vgpr57
                                        ; implicit-def: $vgpr54_vgpr55
                                        ; implicit-def: $vgpr41_vgpr42
                                        ; implicit-def: $vgpr58_vgpr59
                                        ; implicit-def: $vgpr52_vgpr53
	s_waitcnt vmcnt(0)
	v_cmp_lt_i32_e32 vcc, 0, v2
	s_and_saveexec_b64 s[8:9], vcc
	s_xor_b64 s[8:9], exec, s[8:9]
	s_cbranch_execz .LBB0_211
; %bb.204:
	buffer_load_dword v2, off, s[0:3], s33 offset:828 ; 4-byte Folded Reload
                                        ; implicit-def: $vgpr44_vgpr45
                                        ; implicit-def: $vgpr56_vgpr57
                                        ; implicit-def: $vgpr54_vgpr55
                                        ; implicit-def: $vgpr41_vgpr42
                                        ; implicit-def: $vgpr58_vgpr59
                                        ; implicit-def: $vgpr52_vgpr53
	s_waitcnt vmcnt(0)
	v_cmp_lt_i32_e32 vcc, 1, v2
	s_and_saveexec_b64 s[10:11], vcc
	s_xor_b64 s[10:11], exec, s[10:11]
	s_cbranch_execz .LBB0_208
; %bb.205:
	buffer_load_dword v2, off, s[0:3], s33 offset:828 ; 4-byte Folded Reload
	v_mov_b32_e32 v44, 0
	v_mov_b32_e32 v56, 0
	;; [unrolled: 1-line block ×12, first 2 shown]
	s_waitcnt vmcnt(0)
	v_cmp_eq_u32_e32 vcc, 2, v2
	s_and_saveexec_b64 s[12:13], vcc
	s_cbranch_execz .LBB0_207
; %bb.206:
	s_mov_b32 s14, 0xf2659ea3
	v_mov_b32_e32 v48, 0x69e53e5f
	v_mov_b32_e32 v49, 0x3faee9b9
	s_mov_b32 s15, 0xbf8305fb
	v_fma_f64 v[52:53], v[50:51], s[14:15], v[48:49]
	s_mov_b32 s14, 0xa6d85c05
	v_mov_b32_e32 v48, 0xa78fc4ff
	v_mov_b32_e32 v49, 0x3fe8dbbc
	s_mov_b32 s15, 0xbfbe984a
	v_fma_f64 v[58:59], v[50:51], s[14:15], v[48:49]
	;; [unrolled: 5-line block ×6, first 2 shown]
.LBB0_207:
	s_or_b64 exec, exec, s[12:13]
                                        ; implicit-def: $vgpr50_vgpr51
.LBB0_208:
	s_andn2_saveexec_b64 s[10:11], s[10:11]
	s_cbranch_execz .LBB0_210
; %bb.209:
	s_mov_b32 s12, 0x524bf7a9
	v_mov_b32_e32 v48, 0x6e4ad393
	v_mov_b32_e32 v49, 0x3fc0ba91
	s_mov_b32 s13, 0xbf9dbd74
	v_fma_f64 v[52:53], v[50:51], s[12:13], v[48:49]
	s_mov_b32 s12, 0xb2c2e8dd
	v_mov_b32_e32 v48, 0xe91b52bc
	v_mov_b32_e32 v49, 0x4006f456
	s_mov_b32 s13, 0xbfe46769
	v_fma_f64 v[58:59], v[50:51], s[12:13], v[48:49]
	;; [unrolled: 5-line block ×4, first 2 shown]
	v_mov_b32_e32 v44, 0
	v_mov_b32_e32 v41, 0
	;; [unrolled: 1-line block ×4, first 2 shown]
.LBB0_210:
	s_or_b64 exec, exec, s[10:11]
                                        ; implicit-def: $vgpr50_vgpr51
.LBB0_211:
	s_andn2_saveexec_b64 s[8:9], s[8:9]
	s_cbranch_execz .LBB0_215
; %bb.212:
	buffer_load_dword v2, off, s[0:3], s33 offset:828 ; 4-byte Folded Reload
	v_mov_b32_e32 v44, 0
	v_mov_b32_e32 v54, 0
	;; [unrolled: 1-line block ×6, first 2 shown]
	s_waitcnt vmcnt(0)
	v_cmp_eq_u32_e32 vcc, 0, v2
	s_and_saveexec_b64 s[10:11], vcc
	s_cbranch_execz .LBB0_214
; %bb.213:
	s_mov_b32 s12, 0
	s_mov_b32 s13, 0xc0140000
	v_div_scale_f64 v[48:49], s[14:15], s[12:13], s[12:13], v[50:51]
	v_rcp_f64_e32 v[52:53], v[48:49]
	v_fma_f64 v[54:55], -v[48:49], v[52:53], 1.0
	v_fma_f64 v[52:53], v[52:53], v[54:55], v[52:53]
	v_fma_f64 v[54:55], -v[48:49], v[52:53], 1.0
	v_fma_f64 v[52:53], v[52:53], v[54:55], v[52:53]
	v_div_scale_f64 v[54:55], vcc, v[50:51], s[12:13], v[50:51]
	v_mul_f64 v[40:41], v[54:55], v[52:53]
	v_fma_f64 v[48:49], -v[48:49], v[40:41], v[54:55]
	s_nop 1
	v_div_fmas_f64 v[48:49], v[48:49], v[52:53], v[40:41]
	v_div_fixup_f64 v[48:49], v[48:49], s[12:13], v[50:51]
	s_mov_b32 s12, 0
	s_mov_b32 s13, 0xc0080000
	v_add_f64 v[52:53], v[48:49], 0.5
	v_div_scale_f64 v[48:49], s[14:15], s[12:13], s[12:13], v[50:51]
	v_rcp_f64_e32 v[54:55], v[48:49]
	v_fma_f64 v[40:41], -v[48:49], v[54:55], 1.0
	v_fma_f64 v[54:55], v[54:55], v[40:41], v[54:55]
	v_fma_f64 v[40:41], -v[48:49], v[54:55], 1.0
	v_fma_f64 v[54:55], v[54:55], v[40:41], v[54:55]
	v_div_scale_f64 v[40:41], vcc, v[50:51], s[12:13], v[50:51]
	v_mul_f64 v[42:43], v[40:41], v[54:55]
	v_fma_f64 v[48:49], -v[48:49], v[42:43], v[40:41]
	buffer_load_dword v40, off, s[0:3], s33 offset:716 ; 4-byte Folded Reload
	s_nop 0
	v_div_fmas_f64 v[48:49], v[48:49], v[54:55], v[42:43]
	v_div_fixup_f64 v[48:49], v[48:49], s[12:13], v[50:51]
	v_add_f64 v[54:55], v[48:49], 1.0
.LBB0_214:
	s_or_b64 exec, exec, s[10:11]
	v_mov_b32_e32 v56, 0
	v_mov_b32_e32 v41, 0
	;; [unrolled: 1-line block ×6, first 2 shown]
.LBB0_215:
	s_or_b64 exec, exec, s[8:9]
.LBB0_216:
	s_or_b64 exec, exec, s[6:7]
	v_cmp_lt_i32_e32 vcc, 1, v10
	buffer_store_dword v53, off, s[0:3], s33 offset:68
	buffer_store_dword v52, off, s[0:3], s33 offset:64
	;; [unrolled: 1-line block ×4, first 2 shown]
	s_and_saveexec_b64 s[6:7], vcc
	s_cbranch_execz .LBB0_218
; %bb.217:
	buffer_store_dword v59, off, s[0:3], s33 offset:76
	buffer_store_dword v58, off, s[0:3], s33 offset:72
	;; [unrolled: 1-line block ×4, first 2 shown]
.LBB0_218:
	s_or_b64 exec, exec, s[6:7]
	v_cmp_lt_i32_e32 vcc, 3, v10
	s_and_saveexec_b64 s[6:7], vcc
	s_cbranch_execz .LBB0_220
; %bb.219:
	buffer_store_dword v42, off, s[0:3], s33 offset:84
	buffer_store_dword v41, off, s[0:3], s33 offset:80
	;; [unrolled: 1-line block ×4, first 2 shown]
.LBB0_220:
	s_or_b64 exec, exec, s[6:7]
	buffer_load_dword v47, off, s[0:3], s33 offset:832 ; 4-byte Folded Reload
.LBB0_221:
	s_or_b64 exec, exec, s[4:5]
	v_cmp_lt_i32_e32 vcc, -2, v10
	v_mov_b32_e32 v10, 0
	v_mov_b32_e32 v11, 0
	s_and_saveexec_b64 s[6:7], vcc
	s_cbranch_execz .LBB0_297
; %bb.222:
	v_mul_f64 v[10:11], v[6:7], v[4:5]
	s_mov_b32 s4, 0
	s_brev_b32 s5, 8
	v_mov_b32_e32 v2, 0x100
	v_writelane_b32 v61, s6, 2
	v_writelane_b32 v61, s7, 3
	v_add_f64 v[56:57], v[18:19], -v[22:23]
	s_mov_b32 s8, 0x652b82fe
	v_cmp_gt_f64_e64 s[4:5], s[4:5], v[10:11]
	s_mov_b32 s9, 0x3ff71547
	s_mov_b32 s69, 0xbfe62e42
	;; [unrolled: 1-line block ×7, first 2 shown]
	v_cndmask_b32_e64 v2, 0, v2, s[4:5]
	v_ldexp_f64 v[2:3], v[10:11], v2
	s_mov_b32 s10, 0x6a5dcb37
	s_mov_b32 s11, 0x3e5ade15
	;; [unrolled: 1-line block ×7, first 2 shown]
	v_rsq_f64_e32 v[10:11], v[2:3]
	s_mov_b32 s17, 0x3f2a01a0
	s_mov_b32 s18, 0x1852b7b0
	;; [unrolled: 1-line block ×15, first 2 shown]
	v_mul_f64 v[16:17], v[2:3], v[10:11]
	v_mul_f64 v[10:11], v[10:11], 0.5
	v_add_f64 v[50:51], v[20:21], -v[24:25]
	s_mov_b32 s54, 0x55555555
	s_mov_b32 s52, 0x3abe935a
	;; [unrolled: 1-line block ×6, first 2 shown]
	v_fma_f64 v[30:31], -v[10:11], v[16:17], 0.5
	s_mov_b32 s53, 0x3fbe25e4
	s_mov_b32 s81, 0x3fc110ef
	;; [unrolled: 1-line block ×4, first 2 shown]
	s_movk_i32 s34, 0x204
	s_brev_b32 s35, -2
	s_mov_b32 s87, 0xbfe55555
	v_fma_f64 v[16:17], v[16:17], v[30:31], v[16:17]
	v_fma_f64 v[10:11], v[10:11], v[30:31], v[10:11]
	s_mov_b32 s38, s89
	s_mov_b32 s39, s90
	;; [unrolled: 1-line block ×3, first 2 shown]
	s_mov_b64 s[64:65], s[92:93]
	s_mov_b64 s[70:71], s[94:95]
	;; [unrolled: 1-line block ×3, first 2 shown]
	v_fma_f64 v[30:31], -v[16:17], v[16:17], v[2:3]
	v_fma_f64 v[16:17], v[30:31], v[10:11], v[16:17]
	v_fma_f64 v[30:31], -v[16:17], v[16:17], v[2:3]
	v_fma_f64 v[10:11], v[30:31], v[10:11], v[16:17]
	buffer_load_dword v30, off, s[0:3], s33 offset:1000 ; 4-byte Folded Reload
	buffer_load_dword v31, off, s[0:3], s33 offset:1004 ; 4-byte Folded Reload
	;; [unrolled: 1-line block ×8, first 2 shown]
	s_waitcnt vmcnt(2)
	v_mul_f64 v[16:17], v[30:31], v[32:33]
	v_div_scale_f64 v[30:31], s[6:7], v[4:5], v[4:5], v[16:17]
	v_rcp_f64_e32 v[32:33], v[30:31]
	s_waitcnt vmcnt(0)
	v_fma_f64 v[34:35], -v[30:31], v[32:33], 1.0
	v_fma_f64 v[32:33], v[32:33], v[34:35], v[32:33]
	v_fma_f64 v[34:35], -v[30:31], v[32:33], 1.0
	v_fma_f64 v[32:33], v[32:33], v[34:35], v[32:33]
	v_div_scale_f64 v[34:35], vcc, v[16:17], v[4:5], v[16:17]
	v_mul_f64 v[36:37], v[34:35], v[32:33]
	v_fma_f64 v[30:31], -v[30:31], v[36:37], v[34:35]
	s_nop 1
	v_div_fmas_f64 v[30:31], v[30:31], v[32:33], v[36:37]
	v_div_scale_f64 v[32:33], s[6:7], v[6:7], v[6:7], 0.5
	v_div_fixup_f64 v[54:55], v[30:31], v[4:5], v[16:17]
	v_rcp_f64_e32 v[34:35], v[32:33]
	v_fma_f64 v[36:37], -v[32:33], v[34:35], 1.0
	v_fma_f64 v[34:35], v[34:35], v[36:37], v[34:35]
	v_fma_f64 v[36:37], -v[32:33], v[34:35], 1.0
	v_fma_f64 v[34:35], v[34:35], v[36:37], v[34:35]
	v_div_scale_f64 v[36:37], vcc, 0.5, v[6:7], 0.5
	v_mul_f64 v[38:39], v[36:37], v[34:35]
	v_fma_f64 v[32:33], -v[32:33], v[38:39], v[36:37]
	s_nop 1
	v_div_fmas_f64 v[0:1], v[32:33], v[34:35], v[38:39]
	v_div_scale_f64 v[32:33], s[6:7], v[4:5], v[4:5], 0.5
	buffer_store_dword v0, off, s[0:3], s33 offset:780 ; 4-byte Folded Spill
	s_nop 0
	buffer_store_dword v1, off, s[0:3], s33 offset:784 ; 4-byte Folded Spill
	v_rcp_f64_e32 v[34:35], v[32:33]
	v_fma_f64 v[36:37], -v[32:33], v[34:35], 1.0
	v_fma_f64 v[34:35], v[34:35], v[36:37], v[34:35]
	v_fma_f64 v[36:37], -v[32:33], v[34:35], 1.0
	v_fma_f64 v[34:35], v[34:35], v[36:37], v[34:35]
	v_div_scale_f64 v[36:37], vcc, 0.5, v[4:5], 0.5
	v_mul_f64 v[38:39], v[36:37], v[34:35]
	v_fma_f64 v[32:33], -v[32:33], v[38:39], v[36:37]
	s_nop 1
	v_div_fmas_f64 v[0:1], v[32:33], v[34:35], v[38:39]
	buffer_store_dword v0, off, s[0:3], s33 offset:788 ; 4-byte Folded Spill
	s_nop 0
	buffer_store_dword v1, off, s[0:3], s33 offset:792 ; 4-byte Folded Spill
	buffer_load_dword v32, off, s[0:3], s33 offset:968 ; 4-byte Folded Reload
	buffer_load_dword v33, off, s[0:3], s33 offset:972 ; 4-byte Folded Reload
	;; [unrolled: 1-line block ×8, first 2 shown]
	s_nop 0
	buffer_store_dword v12, off, s[0:3], s33 offset:796 ; 4-byte Folded Spill
	s_nop 0
	buffer_store_dword v13, off, s[0:3], s33 offset:800 ; 4-byte Folded Spill
	v_mov_b32_e32 v0, v26
	v_mov_b32_e32 v1, v27
	s_waitcnt vmcnt(4)
	v_mul_f64 v[32:33], v[32:33], -v[34:35]
	v_div_scale_f64 v[34:35], s[6:7], v[6:7], v[6:7], v[32:33]
	s_mov_b32 s6, 0x54442d18
	s_mov_b32 s7, 0x400921fb
	s_waitcnt vmcnt(2)
	v_rcp_f64_e32 v[36:37], v[34:35]
	v_fma_f64 v[38:39], -v[34:35], v[36:37], 1.0
	v_fma_f64 v[36:37], v[36:37], v[38:39], v[36:37]
	v_fma_f64 v[38:39], -v[34:35], v[36:37], 1.0
	v_fma_f64 v[36:37], v[36:37], v[38:39], v[36:37]
	v_div_scale_f64 v[38:39], vcc, v[32:33], v[6:7], v[32:33]
	v_mul_f64 v[52:53], v[38:39], v[36:37]
	v_fma_f64 v[34:35], -v[34:35], v[52:53], v[38:39]
	s_nop 1
	v_div_fmas_f64 v[34:35], v[34:35], v[36:37], v[52:53]
	v_mov_b32_e32 v36, 0xffffff80
	v_cndmask_b32_e64 v36, 0, v36, s[4:5]
	v_ldexp_f64 v[10:11], v[10:11], v36
	v_mov_b32_e32 v36, 0x260
	v_cmp_class_f64_e32 vcc, v[2:3], v36
	s_mov_b32 s4, 0xfca7ab0c
	s_mov_b32 s5, 0x3e928af3
	v_mov_b32_e32 v23, s5
	v_mov_b32_e32 v22, s4
	;; [unrolled: 1-line block ×3, first 2 shown]
	v_cndmask_b32_e32 v53, v11, v3, vcc
	v_cndmask_b32_e32 v52, v10, v2, vcc
	buffer_load_dword v10, off, s[0:3], s33 offset:676 ; 4-byte Folded Reload
	buffer_load_dword v11, off, s[0:3], s33 offset:680 ; 4-byte Folded Reload
	;; [unrolled: 1-line block ×8, first 2 shown]
	v_div_fixup_f64 v[41:42], v[34:35], v[6:7], v[32:33]
	v_mul_f64 v[2:3], v[56:57], v[54:55]
	v_mov_b32_e32 v33, v9
	v_mov_b32_e32 v32, v8
	v_add_f64 v[38:39], v[32:33], -v[14:15]
	v_mul_f64 v[2:3], v[56:57], v[2:3]
	s_waitcnt vmcnt(2)
	v_add_f64 v[58:59], v[43:44], -v[10:11]
	s_waitcnt vmcnt(0)
	v_add_f64 v[34:35], v[45:46], -v[12:13]
	v_mov_b32_e32 v12, 0x7ff00000
	v_mul_f64 v[10:11], v[58:59], v[41:42]
	v_fma_f64 v[2:3], v[58:59], v[10:11], -v[2:3]
	v_mul_f64 v[10:11], v[2:3], s[8:9]
	v_cmp_nlt_f64_e32 vcc, s[28:29], v[2:3]
	v_cmp_ngt_f64_e64 s[4:5], s[40:41], v[2:3]
	v_rndne_f64_e32 v[10:11], v[10:11]
	v_fma_f64 v[16:17], v[10:11], s[84:85], v[2:3]
	v_fma_f64 v[16:17], v[10:11], s[98:99], v[16:17]
	v_cvt_i32_f64_e32 v10, v[10:11]
	v_fma_f64 v[26:27], v[16:17], s[10:11], v[22:23]
	v_fma_f64 v[26:27], v[16:17], v[26:27], s[12:13]
	;; [unrolled: 1-line block ×9, first 2 shown]
	v_fma_f64 v[26:27], v[16:17], v[26:27], 1.0
	v_fma_f64 v[16:17], v[16:17], v[26:27], 1.0
	v_ldexp_f64 v[10:11], v[16:17], v10
	v_mul_f64 v[10:11], v[10:11], s[6:7]
	v_cndmask_b32_e32 v11, v36, v11, vcc
	s_and_b64 vcc, s[4:5], vcc
	v_cndmask_b32_e64 v27, 0, v11, s[4:5]
	v_cndmask_b32_e32 v26, 0, v10, vcc
	v_div_scale_f64 v[2:3], s[4:5], v[52:53], v[52:53], v[26:27]
	v_rcp_f64_e32 v[10:11], v[2:3]
	v_fma_f64 v[16:17], -v[2:3], v[10:11], 1.0
	v_fma_f64 v[10:11], v[10:11], v[16:17], v[10:11]
	v_fma_f64 v[16:17], -v[2:3], v[10:11], 1.0
	v_fma_f64 v[10:11], v[10:11], v[16:17], v[10:11]
	v_div_scale_f64 v[16:17], vcc, v[26:27], v[52:53], v[26:27]
	v_mul_f64 v[30:31], v[16:17], v[10:11]
	v_fma_f64 v[2:3], -v[2:3], v[30:31], v[16:17]
	s_nop 1
	v_div_fmas_f64 v[2:3], v[2:3], v[10:11], v[30:31]
	buffer_store_dword v2, off, s[0:3], s33 offset:804 ; 4-byte Folded Spill
	s_nop 0
	buffer_store_dword v3, off, s[0:3], s33 offset:808 ; 4-byte Folded Spill
	v_mul_f64 v[2:3], v[50:51], v[54:55]
	v_mul_f64 v[10:11], v[34:35], v[41:42]
	;; [unrolled: 1-line block ×3, first 2 shown]
	v_fma_f64 v[2:3], v[34:35], v[10:11], -v[2:3]
	v_mul_f64 v[10:11], v[2:3], s[8:9]
	v_cmp_nlt_f64_e32 vcc, s[28:29], v[2:3]
	v_cmp_ngt_f64_e64 s[4:5], s[40:41], v[2:3]
	v_rndne_f64_e32 v[10:11], v[10:11]
	v_fma_f64 v[16:17], v[10:11], s[84:85], v[2:3]
	v_fma_f64 v[16:17], v[10:11], s[98:99], v[16:17]
	v_cvt_i32_f64_e32 v10, v[10:11]
	v_fma_f64 v[24:25], v[16:17], s[10:11], v[22:23]
	v_fma_f64 v[24:25], v[16:17], v[24:25], s[12:13]
	;; [unrolled: 1-line block ×9, first 2 shown]
	v_fma_f64 v[24:25], v[16:17], v[24:25], 1.0
	v_fma_f64 v[16:17], v[16:17], v[24:25], 1.0
	v_ldexp_f64 v[10:11], v[16:17], v10
	v_mul_f64 v[10:11], v[10:11], s[6:7]
	v_cndmask_b32_e32 v11, v36, v11, vcc
	s_and_b64 vcc, s[4:5], vcc
	v_cndmask_b32_e64 v3, 0, v11, s[4:5]
	v_cndmask_b32_e32 v2, 0, v10, vcc
	v_div_scale_f64 v[10:11], s[4:5], v[52:53], v[52:53], v[2:3]
	v_mov_b32_e32 v37, v29
	v_mov_b32_e32 v36, v28
	v_rcp_f64_e32 v[16:17], v[10:11]
	v_fma_f64 v[24:25], -v[10:11], v[16:17], 1.0
	v_fma_f64 v[16:17], v[16:17], v[24:25], v[16:17]
	v_fma_f64 v[24:25], -v[10:11], v[16:17], 1.0
	v_fma_f64 v[16:17], v[16:17], v[24:25], v[16:17]
	v_div_scale_f64 v[24:25], vcc, v[2:3], v[52:53], v[2:3]
	v_mul_f64 v[28:29], v[24:25], v[16:17]
	v_fma_f64 v[10:11], -v[10:11], v[28:29], v[24:25]
	s_nop 1
	v_div_fmas_f64 v[48:49], v[10:11], v[16:17], v[28:29]
	buffer_load_dword v28, off, s[0:3], s33 offset:660 ; 4-byte Folded Reload
	buffer_load_dword v29, off, s[0:3], s33 offset:664 ; 4-byte Folded Reload
	buffer_load_dword v30, off, s[0:3], s33 offset:668 ; 4-byte Folded Reload
	buffer_load_dword v31, off, s[0:3], s33 offset:672 ; 4-byte Folded Reload
	buffer_load_dword v8, off, s[0:3], s33 offset:764 ; 4-byte Folded Reload
	buffer_load_dword v9, off, s[0:3], s33 offset:768 ; 4-byte Folded Reload
	buffer_load_dword v10, off, s[0:3], s33 offset:772 ; 4-byte Folded Reload
	buffer_load_dword v11, off, s[0:3], s33 offset:776 ; 4-byte Folded Reload
	v_mul_f64 v[16:17], v[38:39], v[54:55]
	v_mul_f64 v[16:17], v[38:39], v[16:17]
	v_div_fixup_f64 v[2:3], v[48:49], v[52:53], v[2:3]
	s_waitcnt vmcnt(0)
	v_add_f64 v[10:11], v[8:9], -v[28:29]
	v_mul_f64 v[24:25], v[10:11], v[41:42]
	v_fma_f64 v[16:17], v[10:11], v[24:25], -v[16:17]
	v_mul_f64 v[24:25], v[16:17], s[8:9]
	v_cmp_nlt_f64_e32 vcc, s[28:29], v[16:17]
	v_cmp_ngt_f64_e64 s[4:5], s[40:41], v[16:17]
	v_rndne_f64_e32 v[24:25], v[24:25]
	v_fma_f64 v[28:29], v[24:25], s[84:85], v[16:17]
	s_mov_b32 s85, 0x3fe62e42
	v_fma_f64 v[28:29], v[24:25], s[98:99], v[28:29]
	v_cvt_i32_f64_e32 v24, v[24:25]
	s_mov_b32 s99, 0x3c7abc9e
	v_fma_f64 v[22:23], v[28:29], s[10:11], v[22:23]
	v_fma_f64 v[22:23], v[28:29], v[22:23], s[12:13]
	;; [unrolled: 1-line block ×9, first 2 shown]
	v_fma_f64 v[22:23], v[28:29], v[22:23], 1.0
	v_fma_f64 v[22:23], v[28:29], v[22:23], 1.0
	v_ldexp_f64 v[22:23], v[22:23], v24
	v_mul_f64 v[22:23], v[22:23], s[6:7]
	v_cndmask_b32_e32 v23, v12, v23, vcc
	s_and_b64 vcc, s[4:5], vcc
	v_cndmask_b32_e64 v17, 0, v23, s[4:5]
	v_cndmask_b32_e32 v16, 0, v22, vcc
	v_div_scale_f64 v[22:23], s[4:5], v[52:53], v[52:53], v[16:17]
	s_lshr_b32 s4, s33, 6
	s_addk_i32 s4, 0xc0
	s_lshr_b32 s6, s33, 6
	s_addk_i32 s6, 0xc0
	s_or_b32 s5, s6, 8
	v_writelane_b32 v61, s5, 4
	v_rcp_f64_e32 v[24:25], v[22:23]
	v_fma_f64 v[28:29], -v[22:23], v[24:25], 1.0
	v_fma_f64 v[24:25], v[24:25], v[28:29], v[24:25]
	v_fma_f64 v[28:29], -v[22:23], v[24:25], 1.0
	v_fma_f64 v[24:25], v[24:25], v[28:29], v[24:25]
	v_div_scale_f64 v[28:29], vcc, v[16:17], v[52:53], v[16:17]
	v_mul_f64 v[30:31], v[28:29], v[24:25]
	v_fma_f64 v[22:23], -v[22:23], v[30:31], v[28:29]
	s_nop 1
	v_div_fmas_f64 v[22:23], v[22:23], v[24:25], v[30:31]
	buffer_load_dword v24, off, s[0:3], s33 offset:748 ; 4-byte Folded Reload
	buffer_load_dword v25, off, s[0:3], s33 offset:752 ; 4-byte Folded Reload
	v_add_f64 v[30:31], v[36:37], -v[43:44]
	s_waitcnt vmcnt(0)
	v_add_f64 v[12:13], v[24:25], -v[43:44]
	buffer_load_dword v43, off, s[0:3], s33 offset:796 ; 4-byte Folded Reload
	buffer_load_dword v44, off, s[0:3], s33 offset:800 ; 4-byte Folded Reload
	;; [unrolled: 1-line block ×4, first 2 shown]
	v_add_f64 v[41:42], v[24:25], -v[18:19]
	buffer_load_dword v24, off, s[0:3], s33 offset:740 ; 4-byte Folded Reload
	buffer_load_dword v25, off, s[0:3], s33 offset:744 ; 4-byte Folded Reload
	v_add_f64 v[18:19], v[36:37], -v[18:19]
	s_waitcnt vmcnt(4)
	v_add_f64 v[54:55], v[43:44], -v[45:46]
	s_waitcnt vmcnt(2)
	v_add_f64 v[14:15], v[28:29], -v[45:46]
	v_add_f64 v[28:29], v[28:29], -v[20:21]
	;; [unrolled: 1-line block ×3, first 2 shown]
	s_waitcnt vmcnt(0)
	v_add_f64 v[36:37], v[24:25], -v[8:9]
	v_add_f64 v[8:9], v[0:1], -v[8:9]
	v_add_f64 v[43:44], v[0:1], -v[32:33]
	v_add_f64 v[0:1], v[24:25], -v[32:33]
	buffer_load_dword v24, off, s[0:3], s33 offset:804 ; 4-byte Folded Reload
	buffer_load_dword v25, off, s[0:3], s33 offset:808 ; 4-byte Folded Reload
	v_mul_f64 v[8:9], v[4:5], v[8:9]
	s_waitcnt vmcnt(0)
	v_div_fixup_f64 v[24:25], v[24:25], v[52:53], v[26:27]
	buffer_store_dword v24, off, s[0:3], s33 offset:748 ; 4-byte Folded Spill
	s_nop 0
	buffer_store_dword v25, off, s[0:3], s33 offset:752 ; 4-byte Folded Spill
	buffer_store_dword v2, off, s[0:3], s33 offset:756 ; 4-byte Folded Spill
	s_nop 0
	buffer_store_dword v3, off, s[0:3], s33 offset:760 ; 4-byte Folded Spill
	v_div_fixup_f64 v[2:3], v[22:23], v[52:53], v[16:17]
	buffer_store_dword v2, off, s[0:3], s33 offset:764 ; 4-byte Folded Spill
	s_nop 0
	buffer_store_dword v3, off, s[0:3], s33 offset:768 ; 4-byte Folded Spill
	buffer_store_dword v10, off, s[0:3], s33 offset:732 ; 4-byte Folded Spill
	s_nop 0
	buffer_store_dword v11, off, s[0:3], s33 offset:736 ; 4-byte Folded Spill
	;; [unrolled: 3-line block ×4, first 2 shown]
	v_mul_f64 v[2:3], v[4:5], v[41:42]
	v_mov_b32_e32 v41, 0x968915a9
	v_mov_b32_e32 v42, 0x3fba6564
	v_fma_f64 v[2:3], v[6:7], v[18:19], v[2:3]
	buffer_store_dword v2, off, s[0:3], s33 offset:892 ; 4-byte Folded Spill
	s_nop 0
	buffer_store_dword v3, off, s[0:3], s33 offset:896 ; 4-byte Folded Spill
	buffer_store_dword v28, off, s[0:3], s33 offset:868 ; 4-byte Folded Spill
	s_nop 0
	buffer_store_dword v29, off, s[0:3], s33 offset:872 ; 4-byte Folded Spill
	v_mul_f64 v[2:3], v[4:5], v[28:29]
	v_fma_f64 v[2:3], v[6:7], v[20:21], v[2:3]
	buffer_store_dword v2, off, s[0:3], s33 offset:900 ; 4-byte Folded Spill
	s_nop 0
	buffer_store_dword v3, off, s[0:3], s33 offset:904 ; 4-byte Folded Spill
	buffer_store_dword v43, off, s[0:3], s33 offset:884 ; 4-byte Folded Spill
	s_nop 0
	buffer_store_dword v44, off, s[0:3], s33 offset:888 ; 4-byte Folded Spill
	v_mul_f64 v[2:3], v[4:5], v[43:44]
	v_mov_b32_e32 v43, 0x7ff80000
	v_fma_f64 v[0:1], v[6:7], v[0:1], v[2:3]
	buffer_store_dword v0, off, s[0:3], s33 offset:908 ; 4-byte Folded Spill
	s_nop 0
	buffer_store_dword v1, off, s[0:3], s33 offset:912 ; 4-byte Folded Spill
	buffer_store_dword v30, off, s[0:3], s33 offset:844 ; 4-byte Folded Spill
	s_nop 0
	buffer_store_dword v31, off, s[0:3], s33 offset:848 ; 4-byte Folded Spill
	v_mul_f64 v[0:1], v[4:5], v[12:13]
	v_mul_f64 v[2:3], v[4:5], v[14:15]
	v_mov_b32_e32 v12, v58
	v_mov_b32_e32 v13, v59
	v_fma_f64 v[0:1], v[6:7], v[30:31], v[0:1]
	buffer_store_dword v0, off, s[0:3], s33 offset:916 ; 4-byte Folded Spill
	s_nop 0
	buffer_store_dword v1, off, s[0:3], s33 offset:920 ; 4-byte Folded Spill
	buffer_store_dword v54, off, s[0:3], s33 offset:852 ; 4-byte Folded Spill
	s_nop 0
	buffer_store_dword v55, off, s[0:3], s33 offset:856 ; 4-byte Folded Spill
	v_fma_f64 v[0:1], v[6:7], v[54:55], v[2:3]
	buffer_store_dword v0, off, s[0:3], s33 offset:924 ; 4-byte Folded Spill
	s_nop 0
	buffer_store_dword v1, off, s[0:3], s33 offset:928 ; 4-byte Folded Spill
	buffer_store_dword v36, off, s[0:3], s33 offset:876 ; 4-byte Folded Spill
	s_nop 0
	buffer_store_dword v37, off, s[0:3], s33 offset:880 ; 4-byte Folded Spill
	v_fma_f64 v[0:1], v[6:7], v[36:37], v[8:9]
	buffer_store_dword v0, off, s[0:3], s33 offset:932 ; 4-byte Folded Spill
	s_nop 0
	buffer_store_dword v1, off, s[0:3], s33 offset:936 ; 4-byte Folded Spill
	buffer_load_dword v0, off, s[0:3], s33 offset:780 ; 4-byte Folded Reload
	s_nop 0
	buffer_load_dword v1, off, s[0:3], s33 offset:784 ; 4-byte Folded Reload
	s_waitcnt vmcnt(0)
	v_div_fixup_f64 v[0:1], v[0:1], v[6:7], 0.5
	buffer_store_dword v0, off, s[0:3], s33 offset:940 ; 4-byte Folded Spill
	s_nop 0
	buffer_store_dword v1, off, s[0:3], s33 offset:944 ; 4-byte Folded Spill
	buffer_load_dword v0, off, s[0:3], s33 offset:788 ; 4-byte Folded Reload
	s_nop 0
	buffer_load_dword v1, off, s[0:3], s33 offset:792 ; 4-byte Folded Reload
	s_waitcnt vmcnt(0)
	v_div_fixup_f64 v[0:1], v[0:1], v[4:5], 0.5
	buffer_store_dword v0, off, s[0:3], s33 offset:948 ; 4-byte Folded Spill
	s_nop 0
	buffer_store_dword v1, off, s[0:3], s33 offset:952 ; 4-byte Folded Spill
	buffer_load_dword v3, off, s[0:3], s33 offset:620 ; 4-byte Folded Reload
	buffer_load_dword v6, off, s[0:3], s33 offset:652 ; 4-byte Folded Reload
	;; [unrolled: 1-line block ×6, first 2 shown]
	s_waitcnt vmcnt(5)
	v_mul_lo_u32 v0, v3, 56
	s_waitcnt vmcnt(4)
	v_lshlrev_b32_e32 v1, 3, v6
	v_add_u32_e32 v18, v40, v3
	v_cmp_lt_i32_e64 s[12:13], 1, v18
	v_add3_u32 v0, s4, v1, v0
	buffer_store_dword v0, off, s[0:3], s33 offset:956 ; 4-byte Folded Spill
	s_waitcnt vmcnt(2)
	v_mul_lo_u32 v0, v2, 56
	v_lshlrev_b32_e32 v1, 3, v5
	v_cmp_lt_i32_e64 s[8:9], 0, v18
	v_add_u32_e32 v23, v47, v4
	v_add3_u32 v0, s4, v1, v0
	buffer_store_dword v0, off, s[0:3], s33 offset:960 ; 4-byte Folded Spill
	v_mul_lo_u32 v0, v60, 56
	v_lshlrev_b32_e32 v1, 3, v4
	v_cmp_lt_i32_e64 s[22:23], 0, v23
	v_add3_u32 v0, s4, v1, v0
	buffer_store_dword v0, off, s[0:3], s33 offset:964 ; 4-byte Folded Spill
	buffer_load_dword v0, off, s[0:3], s33 offset:644 ; 4-byte Folded Reload
	s_mov_b32 s4, 0
	s_waitcnt vmcnt(0)
	v_add_u32_e32 v19, v0, v6
	v_cmp_lt_i32_e64 s[6:7], -1, v0
	buffer_load_dword v0, off, s[0:3], s33 offset:648 ; 4-byte Folded Reload
	v_writelane_b32 v61, s6, 5
	v_writelane_b32 v61, s7, 6
	v_cmp_lt_i32_e64 s[6:7], -1, v40
	v_writelane_b32 v61, s6, 7
	v_writelane_b32 v61, s7, 8
	v_cmp_lt_i32_e64 s[10:11], 0, v19
	v_cmp_lt_i32_e64 s[16:17], 1, v19
	v_mov_b32_e32 v40, 0x3ff00000
	s_waitcnt vmcnt(0)
	v_add_u32_e32 v21, v0, v5
	v_cmp_lt_i32_e64 s[6:7], -1, v0
	buffer_load_dword v0, off, s[0:3], s33 offset:592 ; 4-byte Folded Reload
	s_nop 0
	buffer_store_dword v56, off, s[0:3], s33 offset:652 ; 4-byte Folded Spill
	s_nop 0
	buffer_store_dword v57, off, s[0:3], s33 offset:656 ; 4-byte Folded Spill
	buffer_store_dword v50, off, s[0:3], s33 offset:660 ; 4-byte Folded Spill
	s_nop 0
	buffer_store_dword v51, off, s[0:3], s33 offset:664 ; 4-byte Folded Spill
	;; [unrolled: 3-line block ×3, first 2 shown]
	v_writelane_b32 v61, s6, 9
	v_writelane_b32 v61, s7, 10
	v_cmp_lt_i32_e64 s[6:7], -1, v15
	v_writelane_b32 v61, s6, 11
	v_writelane_b32 v61, s7, 12
	v_cmp_lt_i32_e64 s[6:7], -1, v47
	v_writelane_b32 v61, s6, 13
	v_writelane_b32 v61, s7, 14
	v_add_u32_e32 v20, v15, v2
	v_cmp_lt_i32_e64 s[18:19], 1, v20
	v_cmp_lt_i32_e64 s[14:15], 0, v21
	s_waitcnt vmcnt(6)
	v_cmp_lt_i32_e64 s[6:7], -1, v0
	v_writelane_b32 v61, s6, 15
	v_writelane_b32 v61, s7, 16
	;; [unrolled: 1-line block ×4, first 2 shown]
	v_add_u32_e32 v22, v0, v60
	v_writelane_b32 v61, s18, 19
	v_writelane_b32 v61, s19, 20
	v_cmp_lt_i32_e64 s[24:25], 1, v22
	v_writelane_b32 v61, s24, 21
	v_writelane_b32 v61, s25, 22
	;; [unrolled: 1-line block ×6, first 2 shown]
	s_and_b64 s[8:9], s[8:9], s[10:11]
	v_writelane_b32 v61, s8, 27
	v_cmp_lt_i32_e64 s[12:13], 0, v20
	v_writelane_b32 v61, s9, 28
	v_writelane_b32 v61, s12, 29
	;; [unrolled: 1-line block ×5, first 2 shown]
	s_and_b64 s[8:9], s[12:13], s[14:15]
	v_writelane_b32 v61, s8, 33
	v_cmp_eq_f64_e64 s[10:11], 1.0, v[56:57]
	v_cmp_lt_i32_e64 s[20:21], 0, v22
	v_writelane_b32 v61, s9, 34
	v_writelane_b32 v61, s20, 35
	v_cmp_eq_f64_e64 s[12:13], 1.0, v[50:51]
	v_writelane_b32 v61, s21, 36
	v_writelane_b32 v61, s22, 37
	v_cmp_eq_f64_e64 s[14:15], 1.0, v[38:39]
	v_writelane_b32 v61, s23, 38
	s_and_b64 s[8:9], s[20:21], s[22:23]
	v_writelane_b32 v61, s8, 39
	v_writelane_b32 v61, s9, 40
	;; [unrolled: 1-line block ×6, first 2 shown]
	v_cmp_eq_f64_e64 s[8:9], 1.0, v[12:13]
	v_writelane_b32 v61, s14, 45
	v_writelane_b32 v61, s15, 46
	v_cmp_eq_f64_e64 s[10:11], 1.0, v[34:35]
	v_writelane_b32 v61, s16, 47
	v_cmp_lt_i32_e64 s[18:19], 1, v21
	v_writelane_b32 v61, s17, 48
	v_cmp_eq_f64_e64 s[12:13], 1.0, v[10:11]
	v_writelane_b32 v61, s18, 49
	v_cmp_lt_i32_e64 s[24:25], 1, v23
	v_writelane_b32 v61, s19, 50
	v_writelane_b32 v61, s24, 51
	;; [unrolled: 1-line block ×7, first 2 shown]
	v_mov_b32_e32 v0, 0
	v_writelane_b32 v61, s12, 57
	s_mov_b64 s[6:7], 0
	v_mov_b32_e32 v56, 0xfca7ab0c
	v_mov_b32_e32 v57, 0x3e928af3
	;; [unrolled: 1-line block ×3, first 2 shown]
	v_writelane_b32 v61, s13, 58
	buffer_store_dword v0, off, s[0:3], s33 offset:740 ; 4-byte Folded Spill
	s_nop 0
	buffer_store_dword v1, off, s[0:3], s33 offset:744 ; 4-byte Folded Spill
	buffer_store_dword v18, off, s[0:3], s33 offset:796 ; 4-byte Folded Spill
	;; [unrolled: 1-line block ×8, first 2 shown]
	s_nop 0
	buffer_store_dword v13, off, s[0:3], s33 offset:712 ; 4-byte Folded Spill
	s_branch .LBB0_225
.LBB0_223:                              ;   in Loop: Header=BB0_225 Depth=1
	s_or_b64 exec, exec, s[6:7]
	buffer_load_dword v15, off, s[0:3], s33 offset:588 ; 4-byte Folded Reload
	buffer_load_dword v18, off, s[0:3], s33 offset:796 ; 4-byte Folded Reload
	;; [unrolled: 1-line block ×9, first 2 shown]
	v_readlane_b32 s16, v61, 47
	v_readlane_b32 s18, v61, 49
	;; [unrolled: 1-line block ×8, first 2 shown]
.LBB0_224:                              ;   in Loop: Header=BB0_225 Depth=1
	s_or_b64 exec, exec, s[6:7]
	buffer_load_dword v12, off, s[0:3], s33 offset:708 ; 4-byte Folded Reload
	buffer_load_dword v13, off, s[0:3], s33 offset:712 ; 4-byte Folded Reload
	;; [unrolled: 1-line block ×4, first 2 shown]
	v_readlane_b32 s4, v61, 62
	v_readlane_b32 s6, v61, 59
	;; [unrolled: 1-line block ×10, first 2 shown]
	s_waitcnt vmcnt(0)
	v_mul_f64 v[0:1], v[0:1], v[35:36]
	v_mul_f64 v[0:1], v[0:1], v[2:3]
	v_lshrrev_b32_e64 v2, 6, s33
	v_add_u32_e32 v3, s4, v2
	v_mov_b32_e32 v2, 0x80
	v_add_u32_e32 v3, v2, v3
	buffer_load_dword v2, v3, s[0:3], 0 offen
	s_nop 0
	buffer_load_dword v3, v3, s[0:3], 0 offen offset:4
	s_nop 0
	buffer_load_dword v4, off, s[0:3], s33 offset:740 ; 4-byte Folded Reload
	buffer_load_dword v5, off, s[0:3], s33 offset:744 ; 4-byte Folded Reload
	s_add_i32 s4, s49, 1
	s_waitcnt vmcnt(0)
	v_fma_f64 v[4:5], v[0:1], v[2:3], v[4:5]
	buffer_store_dword v4, off, s[0:3], s33 offset:740 ; 4-byte Folded Spill
	s_nop 0
	buffer_store_dword v5, off, s[0:3], s33 offset:744 ; 4-byte Folded Spill
	buffer_load_dword v0, off, s[0:3], s33 offset:828 ; 4-byte Folded Reload
	s_waitcnt vmcnt(0)
	v_cmp_eq_u32_e32 vcc, s49, v0
	s_or_b64 s[6:7], vcc, s[6:7]
	s_andn2_b64 exec, exec, s[6:7]
	s_cbranch_execz .LBB0_296
.LBB0_225:                              ; =>This Loop Header: Depth=1
                                        ;     Child Loop BB0_231 Depth 2
                                        ;     Child Loop BB0_234 Depth 2
                                        ;     Child Loop BB0_238 Depth 2
                                        ;       Child Loop BB0_240 Depth 3
                                        ;     Child Loop BB0_244 Depth 2
                                        ;       Child Loop BB0_246 Depth 3
                                        ;     Child Loop BB0_255 Depth 2
                                        ;     Child Loop BB0_258 Depth 2
                                        ;     Child Loop BB0_262 Depth 2
                                        ;       Child Loop BB0_264 Depth 3
                                        ;     Child Loop BB0_268 Depth 2
                                        ;       Child Loop BB0_270 Depth 3
                                        ;     Child Loop BB0_279 Depth 2
                                        ;     Child Loop BB0_282 Depth 2
                                        ;     Child Loop BB0_286 Depth 2
                                        ;       Child Loop BB0_288 Depth 3
                                        ;     Child Loop BB0_292 Depth 2
                                        ;       Child Loop BB0_294 Depth 3
	v_writelane_b32 v61, s6, 59
	v_writelane_b32 v61, s7, 60
	;; [unrolled: 1-line block ×3, first 2 shown]
	s_lshl_b32 s4, s4, 3
	v_lshrrev_b32_e64 v0, 6, s33
	v_add_u32_e32 v1, s4, v0
	v_add_u32_e32 v1, 64, v1
	buffer_load_dword v0, v1, s[0:3], 0 offen
	s_nop 0
	buffer_load_dword v1, v1, s[0:3], 0 offen offset:4
	v_writelane_b32 v61, s4, 62
	s_waitcnt vmcnt(0)
	v_add_f64 v[2:3], v[0:1], 1.0
	v_mul_f64 v[0:1], v[0:1], 0.5
	v_div_scale_f64 v[4:5], s[4:5], v[2:3], v[2:3], 1.0
	v_rcp_f64_e32 v[6:7], v[4:5]
	v_fma_f64 v[8:9], -v[4:5], v[6:7], 1.0
	v_fma_f64 v[6:7], v[6:7], v[8:9], v[6:7]
	v_fma_f64 v[8:9], -v[4:5], v[6:7], 1.0
	v_fma_f64 v[6:7], v[6:7], v[8:9], v[6:7]
	v_div_scale_f64 v[8:9], vcc, 1.0, v[2:3], 1.0
	v_mul_f64 v[10:11], v[8:9], v[6:7]
	v_fma_f64 v[4:5], -v[4:5], v[10:11], v[8:9]
	s_nop 1
	v_div_fmas_f64 v[4:5], v[4:5], v[6:7], v[10:11]
	buffer_load_dword v10, off, s[0:3], s33 offset:836 ; 4-byte Folded Reload
	buffer_load_dword v11, off, s[0:3], s33 offset:840 ; 4-byte Folded Reload
	v_div_fixup_f64 v[31:32], v[4:5], v[2:3], 1.0
	s_waitcnt vmcnt(0)
	v_div_scale_f64 v[2:3], s[4:5], v[10:11], v[10:11], v[0:1]
	v_rcp_f64_e32 v[4:5], v[2:3]
	v_fma_f64 v[6:7], -v[2:3], v[4:5], 1.0
	v_fma_f64 v[4:5], v[4:5], v[6:7], v[4:5]
	v_fma_f64 v[6:7], -v[2:3], v[4:5], 1.0
	v_fma_f64 v[4:5], v[4:5], v[6:7], v[4:5]
	v_div_scale_f64 v[6:7], vcc, v[0:1], v[10:11], v[0:1]
	v_mul_f64 v[8:9], v[6:7], v[4:5]
	v_fma_f64 v[2:3], -v[2:3], v[8:9], v[6:7]
	s_nop 1
	v_div_fmas_f64 v[2:3], v[2:3], v[4:5], v[8:9]
	v_div_fixup_f64 v[0:1], v[2:3], v[10:11], v[0:1]
	v_mul_f64 v[16:17], v[0:1], v[31:32]
	buffer_load_dword v0, off, s[0:3], s33 offset:916 ; 4-byte Folded Reload
	buffer_load_dword v1, off, s[0:3], s33 offset:920 ; 4-byte Folded Reload
	;; [unrolled: 1-line block ×4, first 2 shown]
	s_waitcnt vmcnt(2)
	v_mul_f64 v[0:1], v[0:1], v[16:17]
	v_add_f64 v[0:1], v[0:1], v[0:1]
	s_waitcnt vmcnt(0)
	v_fma_f64 v[2:3], v[2:3], v[31:32], v[0:1]
	buffer_load_dword v0, off, s[0:3], s33 offset:748 ; 4-byte Folded Reload
	buffer_load_dword v1, off, s[0:3], s33 offset:752 ; 4-byte Folded Reload
	s_waitcnt vmcnt(0)
	buffer_store_dword v1, off, s[0:3], s33 offset:196
	buffer_store_dword v0, off, s[0:3], s33 offset:192
	s_mov_b64 s[4:5], exec
	v_readlane_b32 s6, v61, 23
	v_readlane_b32 s7, v61, 24
	s_and_b64 s[6:7], s[4:5], s[6:7]
	s_mov_b64 exec, s[6:7]
	s_cbranch_execz .LBB0_227
; %bb.226:                              ;   in Loop: Header=BB0_225 Depth=1
	buffer_load_dword v0, off, s[0:3], s33 offset:748 ; 4-byte Folded Reload
	buffer_load_dword v1, off, s[0:3], s33 offset:752 ; 4-byte Folded Reload
	s_waitcnt vmcnt(0)
	v_mul_f64 v[0:1], v[0:1], v[2:3]
	buffer_store_dword v1, off, s[0:3], s33 offset:252
	buffer_store_dword v0, off, s[0:3], s33 offset:248
.LBB0_227:                              ;   in Loop: Header=BB0_225 Depth=1
	s_or_b64 exec, exec, s[4:5]
	buffer_load_dword v0, off, s[0:3], s33 offset:892 ; 4-byte Folded Reload
	buffer_load_dword v1, off, s[0:3], s33 offset:896 ; 4-byte Folded Reload
	;; [unrolled: 1-line block ×4, first 2 shown]
	s_waitcnt vmcnt(2)
	v_mul_f64 v[0:1], v[0:1], v[16:17]
	v_add_f64 v[0:1], v[0:1], v[0:1]
	s_waitcnt vmcnt(0)
	v_fma_f64 v[0:1], v[4:5], v[31:32], v[0:1]
	s_mov_b64 s[4:5], exec
	v_readlane_b32 s6, v61, 25
	v_readlane_b32 s7, v61, 26
	s_and_b64 s[6:7], s[4:5], s[6:7]
	s_mov_b64 exec, s[6:7]
	s_cbranch_execz .LBB0_229
; %bb.228:                              ;   in Loop: Header=BB0_225 Depth=1
	buffer_load_dword v4, off, s[0:3], s33 offset:748 ; 4-byte Folded Reload
	buffer_load_dword v5, off, s[0:3], s33 offset:752 ; 4-byte Folded Reload
	s_waitcnt vmcnt(0)
	v_mul_f64 v[4:5], v[4:5], v[0:1]
	buffer_store_dword v5, off, s[0:3], s33 offset:204
	buffer_store_dword v4, off, s[0:3], s33 offset:200
.LBB0_229:                              ;   in Loop: Header=BB0_225 Depth=1
	s_or_b64 exec, exec, s[4:5]
	buffer_load_dword v4, off, s[0:3], s33 offset:940 ; 4-byte Folded Reload
	buffer_load_dword v5, off, s[0:3], s33 offset:944 ; 4-byte Folded Reload
	s_waitcnt vmcnt(0)
	v_fma_f64 v[33:34], v[4:5], v[31:32], v[16:17]
	s_mov_b64 s[4:5], exec
	v_readlane_b32 s6, v61, 17
	v_readlane_b32 s7, v61, 18
	s_and_b64 s[6:7], s[4:5], s[6:7]
	s_mov_b64 exec, s[6:7]
	s_cbranch_execz .LBB0_232
; %bb.230:                              ;   in Loop: Header=BB0_225 Depth=1
	buffer_load_dword v4, off, s[0:3], s33 offset:248
	buffer_load_dword v5, off, s[0:3], s33 offset:252
	s_lshr_b32 s8, s33, 6
	s_addk_i32 s8, 0xc0
	s_mov_b32 s9, 1
	s_mov_b64 s[6:7], 0
.LBB0_231:                              ;   Parent Loop BB0_225 Depth=1
                                        ; =>  This Inner Loop Header: Depth=2
	v_mov_b32_e32 v10, s8
	buffer_load_dword v6, v10, s[0:3], 0 offen
	buffer_load_dword v7, v10, s[0:3], 0 offen offset:4
	v_cvt_f64_i32_e32 v[8:9], s9
	s_add_i32 s9, s9, 1
	s_add_i32 s8, s8, 56
	v_cmp_eq_u32_e32 vcc, s9, v18
	v_mul_f64 v[8:9], v[33:34], v[8:9]
	s_or_b64 s[6:7], vcc, s[6:7]
	s_waitcnt vmcnt(0)
	v_mul_f64 v[6:7], v[6:7], v[8:9]
	v_fma_f64 v[4:5], v[2:3], v[4:5], v[6:7]
	buffer_store_dword v5, v10, s[0:3], 0 offen offset:116
	buffer_store_dword v4, v10, s[0:3], 0 offen offset:112
	s_andn2_b64 exec, exec, s[6:7]
	s_cbranch_execnz .LBB0_231
.LBB0_232:                              ;   in Loop: Header=BB0_225 Depth=1
	s_or_b64 exec, exec, s[4:5]
	buffer_load_dword v2, off, s[0:3], s33 offset:948 ; 4-byte Folded Reload
	buffer_load_dword v3, off, s[0:3], s33 offset:952 ; 4-byte Folded Reload
	s_waitcnt vmcnt(0)
	v_fma_f64 v[29:30], v[2:3], v[31:32], v[16:17]
	s_and_saveexec_b64 s[4:5], s[16:17]
	s_cbranch_execz .LBB0_235
; %bb.233:                              ;   in Loop: Header=BB0_225 Depth=1
	buffer_load_dword v2, off, s[0:3], s33 offset:200
	buffer_load_dword v3, off, s[0:3], s33 offset:204
	s_lshr_b32 s8, s33, 6
	s_addk_i32 s8, 0xc0
	s_mov_b32 s9, 1
	s_mov_b64 s[6:7], 0
.LBB0_234:                              ;   Parent Loop BB0_225 Depth=1
                                        ; =>  This Inner Loop Header: Depth=2
	v_mov_b32_e32 v8, s8
	buffer_load_dword v4, v8, s[0:3], 0 offen
	buffer_load_dword v5, v8, s[0:3], 0 offen offset:4
	v_cvt_f64_i32_e32 v[6:7], s9
	s_add_i32 s9, s9, 1
	s_add_i32 s8, s8, 8
	v_cmp_eq_u32_e32 vcc, s9, v19
	v_mul_f64 v[6:7], v[29:30], v[6:7]
	s_or_b64 s[6:7], vcc, s[6:7]
	s_waitcnt vmcnt(0)
	v_mul_f64 v[4:5], v[4:5], v[6:7]
	v_fma_f64 v[2:3], v[0:1], v[2:3], v[4:5]
	buffer_store_dword v3, v8, s[0:3], 0 offen offset:20
	buffer_store_dword v2, v8, s[0:3], 0 offen offset:16
	s_andn2_b64 exec, exec, s[6:7]
	s_cbranch_execnz .LBB0_234
.LBB0_235:                              ;   in Loop: Header=BB0_225 Depth=1
	s_or_b64 exec, exec, s[4:5]
	s_mov_b64 s[4:5], exec
	v_readlane_b32 s6, v61, 27
	v_readlane_b32 s7, v61, 28
	s_and_b64 s[6:7], s[4:5], s[6:7]
	s_mov_b64 exec, s[6:7]
	s_cbranch_execz .LBB0_241
; %bb.236:                              ;   in Loop: Header=BB0_225 Depth=1
	v_mov_b32_e32 v2, 0
	s_mov_b32 s13, 1
	s_mov_b64 s[6:7], 0
	v_mov_b32_e32 v3, 0x3ff00000
	v_readlane_b32 s12, v61, 4
	s_branch .LBB0_238
.LBB0_237:                              ;   in Loop: Header=BB0_238 Depth=2
	s_or_b64 exec, exec, s[8:9]
	v_add_f64 v[2:3], v[2:3], 1.0
	s_add_i32 s8, s13, 1
	s_add_i32 s12, s12, 56
	v_cmp_eq_u32_e32 vcc, s13, v18
	s_or_b64 s[6:7], vcc, s[6:7]
	s_mov_b32 s13, s8
	s_andn2_b64 exec, exec, s[6:7]
	s_cbranch_execz .LBB0_241
.LBB0_238:                              ;   Parent Loop BB0_225 Depth=1
                                        ; =>  This Loop Header: Depth=2
                                        ;       Child Loop BB0_240 Depth 3
	s_mul_i32 s8, s13, 56
	s_lshr_b32 s9, s33, 6
	s_add_i32 s8, s9, s8
	s_addk_i32 s8, 0xc0
	v_mov_b32_e32 v10, s8
	buffer_load_dword v6, v10, s[0:3], 0 offen
	buffer_load_dword v7, v10, s[0:3], 0 offen offset:4
	s_sub_i32 s8, s8, 56
	v_mov_b32_e32 v4, s8
	buffer_load_dword v8, v4, s[0:3], 0 offen
	buffer_load_dword v9, v4, s[0:3], 0 offen offset:4
	v_mul_f64 v[4:5], v[16:17], v[2:3]
	s_waitcnt vmcnt(2)
	v_mul_f64 v[6:7], v[0:1], v[6:7]
	s_waitcnt vmcnt(0)
	v_fma_f64 v[6:7], v[8:9], v[4:5], v[6:7]
	buffer_store_dword v7, v10, s[0:3], 0 offen offset:12
	buffer_store_dword v6, v10, s[0:3], 0 offen offset:8
	s_and_saveexec_b64 s[8:9], s[16:17]
	s_cbranch_execz .LBB0_237
; %bb.239:                              ;   in Loop: Header=BB0_238 Depth=2
	s_mov_b32 s14, 1
	s_mov_b64 s[10:11], 0
	s_mov_b32 s15, s12
.LBB0_240:                              ;   Parent Loop BB0_225 Depth=1
                                        ;     Parent Loop BB0_238 Depth=2
                                        ; =>    This Inner Loop Header: Depth=3
	v_mov_b32_e32 v14, s15
	buffer_load_dword v8, v14, s[0:3], 0 offen offset:48
	buffer_load_dword v9, v14, s[0:3], 0 offen offset:52
	buffer_load_dword v10, v14, s[0:3], 0 offen
	buffer_load_dword v11, v14, s[0:3], 0 offen offset:4
	v_cvt_f64_i32_e32 v[12:13], s14
	s_add_i32 s14, s14, 1
	s_add_i32 s15, s15, 8
	v_cmp_eq_u32_e32 vcc, s14, v19
	v_mul_f64 v[12:13], v[29:30], v[12:13]
	s_or_b64 s[10:11], vcc, s[10:11]
	s_waitcnt vmcnt(2)
	v_mul_f64 v[8:9], v[8:9], v[12:13]
	s_waitcnt vmcnt(0)
	v_fma_f64 v[8:9], v[4:5], v[10:11], v[8:9]
	v_fma_f64 v[6:7], v[0:1], v[6:7], v[8:9]
	buffer_store_dword v7, v14, s[0:3], 0 offen offset:68
	buffer_store_dword v6, v14, s[0:3], 0 offen offset:64
	s_andn2_b64 exec, exec, s[10:11]
	s_cbranch_execnz .LBB0_240
	s_branch .LBB0_237
.LBB0_241:                              ;   in Loop: Header=BB0_225 Depth=1
	s_or_b64 exec, exec, s[4:5]
	v_mov_b32_e32 v0, 0
	v_mov_b32_e32 v1, 0
	s_mov_b64 s[6:7], exec
	v_readlane_b32 s4, v61, 5
	v_readlane_b32 s5, v61, 6
	s_and_b64 s[4:5], s[6:7], s[4:5]
                                        ; implicit-def: $vgpr62 : SGPR spill to VGPR lane
	buffer_store_dword v16, off, s[0:3], s33 offset:636 ; 4-byte Folded Spill
	s_nop 0
	buffer_store_dword v17, off, s[0:3], s33 offset:640 ; 4-byte Folded Spill
	buffer_store_dword v29, off, s[0:3], s33 offset:692 ; 4-byte Folded Spill
	s_nop 0
	buffer_store_dword v30, off, s[0:3], s33 offset:696 ; 4-byte Folded Spill
	;; [unrolled: 3-line block ×4, first 2 shown]
	s_mov_b64 exec, s[4:5]
	s_cbranch_execz .LBB0_249
; %bb.242:                              ;   in Loop: Header=BB0_225 Depth=1
	buffer_load_dword v45, off, s[0:3], s33 offset:956 ; 4-byte Folded Reload
	v_writelane_b32 v61, s6, 63
	v_mov_b32_e32 v0, 0
	v_writelane_b32 v62, s7, 0
	v_mov_b32_e32 v1, 0
	s_mov_b32 s49, 0
	s_mov_b64 s[6:7], 0
	s_branch .LBB0_244
.LBB0_243:                              ;   in Loop: Header=BB0_244 Depth=2
	s_or_b64 exec, exec, s[6:7]
	buffer_load_dword v44, off, s[0:3], s33 offset:644 ; 4-byte Folded Reload
	s_getpc_b64 s[16:17]
	s_add_u32 s16, s16, _Z13cuda_binomialii@rel32@lo+4
	s_addc_u32 s17, s17, _Z13cuda_binomialii@rel32@hi+12
	s_mov_b64 s[4:5], s[46:47]
	s_mov_b64 s[6:7], s[30:31]
	;; [unrolled: 1-line block ×4, first 2 shown]
	s_mov_b32 s12, s90
	s_mov_b32 s13, s91
	;; [unrolled: 1-line block ×4, first 2 shown]
	v_mov_b32_e32 v1, s49
	s_waitcnt vmcnt(0)
	v_mov_b32_e32 v0, v44
	s_swappc_b64 s[30:31], s[16:17]
	v_subrev_u32_e32 v1, s49, v44
	v_cvt_f64_i32_e32 v[1:2], v1
	v_readlane_b32 s4, v61, 41
	v_readlane_b32 s5, v61, 42
	s_mov_b32 s86, s54
	v_cndmask_b32_e64 v4, v2, v40, s[4:5]
	v_cndmask_b32_e64 v3, v1, 0, s[4:5]
	buffer_load_dword v1, off, s[0:3], s33 offset:652 ; 4-byte Folded Reload
	buffer_load_dword v2, off, s[0:3], s33 offset:656 ; 4-byte Folded Reload
	v_cmp_neq_f64_e32 vcc, 0, v[3:4]
	s_mov_b32 s4, 0x4222de17
	s_mov_b32 s5, 0x3fbdee67
	;; [unrolled: 1-line block ×6, first 2 shown]
	v_readlane_b32 s46, v61, 0
	v_readlane_b32 s47, v61, 1
	s_mov_b64 s[30:31], s[66:67]
	s_mov_b64 s[94:95], s[70:71]
	;; [unrolled: 1-line block ×3, first 2 shown]
	s_mov_b32 s91, s48
	s_mov_b32 s90, s39
	;; [unrolled: 1-line block ×3, first 2 shown]
	v_add_u32_e32 v45, 8, v45
	s_waitcnt vmcnt(1)
	v_cndmask_b32_e32 v1, 0, v1, vcc
	s_waitcnt vmcnt(0)
	v_cndmask_b32_e32 v2, v40, v2, vcc
	v_frexp_mant_f64_e64 v[5:6], |v[1:2]|
	v_cmp_gt_f64_e32 vcc, s[54:55], v[5:6]
	v_cndmask_b32_e64 v7, 0, 1, vcc
	v_ldexp_f64 v[5:6], v[5:6], v7
	v_add_f64 v[7:8], v[5:6], 1.0
	v_add_f64 v[13:14], v[5:6], -1.0
	v_rcp_f64_e32 v[9:10], v[7:8]
	v_add_f64 v[15:16], v[7:8], -1.0
	v_add_f64 v[5:6], v[5:6], -v[15:16]
	v_fma_f64 v[11:12], -v[7:8], v[9:10], 1.0
	v_fma_f64 v[9:10], v[11:12], v[9:10], v[9:10]
	v_fma_f64 v[11:12], -v[7:8], v[9:10], 1.0
	v_fma_f64 v[9:10], v[11:12], v[9:10], v[9:10]
	v_mul_f64 v[11:12], v[13:14], v[9:10]
	v_mul_f64 v[17:18], v[7:8], v[11:12]
	v_fma_f64 v[7:8], v[11:12], v[7:8], -v[17:18]
	v_fma_f64 v[5:6], v[11:12], v[5:6], v[7:8]
	v_add_f64 v[7:8], v[17:18], v[5:6]
	v_add_f64 v[15:16], v[13:14], -v[7:8]
	v_add_f64 v[17:18], v[7:8], -v[17:18]
	;; [unrolled: 1-line block ×5, first 2 shown]
	v_add_f64 v[5:6], v[5:6], v[7:8]
	v_add_f64 v[5:6], v[15:16], v[5:6]
	v_mul_f64 v[5:6], v[9:10], v[5:6]
	v_add_f64 v[7:8], v[11:12], v[5:6]
	v_add_f64 v[9:10], v[7:8], -v[11:12]
	v_mul_f64 v[11:12], v[7:8], v[7:8]
	v_add_f64 v[5:6], v[5:6], -v[9:10]
	v_fma_f64 v[9:10], v[7:8], v[7:8], -v[11:12]
	v_add_f64 v[13:14], v[5:6], v[5:6]
	v_fma_f64 v[9:10], v[7:8], v[13:14], v[9:10]
	v_add_f64 v[13:14], v[11:12], v[9:10]
	v_fma_f64 v[15:16], v[13:14], s[4:5], v[41:42]
	s_mov_b32 s4, 0x1c7792ce
	s_mov_b32 s5, 0x3fcc71c7
	v_add_f64 v[11:12], v[13:14], -v[11:12]
	v_mul_f64 v[21:22], v[7:8], v[13:14]
	v_fma_f64 v[15:16], v[13:14], v[15:16], s[52:53]
	v_add_f64 v[9:10], v[9:10], -v[11:12]
	v_fma_f64 v[15:16], v[13:14], v[15:16], s[80:81]
	v_fma_f64 v[15:16], v[13:14], v[15:16], s[82:83]
	v_fma_f64 v[15:16], v[13:14], v[15:16], s[96:97]
	v_fma_f64 v[15:16], v[13:14], v[15:16], s[4:5]
	s_mov_b32 s4, 0x924920da
	s_mov_b32 s5, 0x3fd24924
	v_fma_f64 v[15:16], v[13:14], v[15:16], s[4:5]
	s_mov_b32 s4, 0x9999999c
	s_mov_b32 s5, 0x3fd99999
	v_fma_f64 v[15:16], v[13:14], v[15:16], s[4:5]
	s_mov_b32 s4, 0xd5df274d
	s_mov_b32 s5, 0x3c8543b0
	v_mul_f64 v[17:18], v[13:14], v[15:16]
	v_fma_f64 v[11:12], v[13:14], v[15:16], -v[17:18]
	v_fma_f64 v[11:12], v[9:10], v[15:16], v[11:12]
	v_add_f64 v[15:16], v[17:18], v[11:12]
	v_add_f64 v[19:20], v[15:16], s[54:55]
	v_add_f64 v[17:18], v[15:16], -v[17:18]
	v_add_f64 v[23:24], v[19:20], s[86:87]
	v_add_f64 v[11:12], v[11:12], -v[17:18]
	v_fma_f64 v[17:18], v[13:14], v[7:8], -v[21:22]
	v_add_f64 v[15:16], v[15:16], -v[23:24]
	v_add_f64 v[11:12], v[11:12], s[4:5]
	v_fma_f64 v[13:14], v[13:14], v[5:6], v[17:18]
	v_ldexp_f64 v[5:6], v[5:6], 1
	s_mov_b32 s4, 0x652b82fe
	s_mov_b32 s5, 0x3ff71547
	v_add_f64 v[11:12], v[11:12], v[15:16]
	v_fma_f64 v[9:10], v[9:10], v[7:8], v[13:14]
	v_ldexp_f64 v[7:8], v[7:8], 1
	v_add_f64 v[13:14], v[19:20], v[11:12]
	v_add_f64 v[15:16], v[21:22], v[9:10]
	v_add_f64 v[17:18], v[19:20], -v[13:14]
	v_mul_f64 v[19:20], v[15:16], v[13:14]
	v_add_f64 v[21:22], v[15:16], -v[21:22]
	v_add_f64 v[11:12], v[11:12], v[17:18]
	v_fma_f64 v[17:18], v[15:16], v[13:14], -v[19:20]
	v_add_f64 v[9:10], v[9:10], -v[21:22]
	v_fma_f64 v[11:12], v[15:16], v[11:12], v[17:18]
	v_fma_f64 v[9:10], v[9:10], v[13:14], v[11:12]
	v_frexp_exp_i32_f64_e32 v13, v[1:2]
	v_add_f64 v[11:12], v[19:20], v[9:10]
	v_subbrev_co_u32_e32 v17, vcc, 0, v13, vcc
	v_cvt_f64_i32_e32 v[17:18], v17
	v_add_f64 v[13:14], v[7:8], v[11:12]
	v_add_f64 v[15:16], v[11:12], -v[19:20]
	v_mul_f64 v[19:20], v[17:18], s[84:85]
	v_add_f64 v[7:8], v[13:14], -v[7:8]
	v_add_f64 v[9:10], v[9:10], -v[15:16]
	v_fma_f64 v[15:16], v[17:18], s[84:85], -v[19:20]
	v_add_f64 v[7:8], v[11:12], -v[7:8]
	v_add_f64 v[5:6], v[5:6], v[9:10]
	v_fma_f64 v[9:10], v[17:18], s[98:99], v[15:16]
	v_add_f64 v[5:6], v[5:6], v[7:8]
	v_add_f64 v[7:8], v[19:20], v[9:10]
	;; [unrolled: 1-line block ×3, first 2 shown]
	v_add_f64 v[19:20], v[7:8], -v[19:20]
	v_add_f64 v[15:16], v[7:8], v[11:12]
	v_add_f64 v[13:14], v[11:12], -v[13:14]
	v_add_f64 v[9:10], v[9:10], -v[19:20]
	v_mov_b32_e32 v19, 0x7ff00000
	v_add_f64 v[17:18], v[15:16], -v[7:8]
	v_add_f64 v[5:6], v[5:6], -v[13:14]
	;; [unrolled: 1-line block ×4, first 2 shown]
	v_add_f64 v[13:14], v[9:10], v[5:6]
	v_add_f64 v[7:8], v[7:8], -v[21:22]
	v_add_f64 v[7:8], v[11:12], v[7:8]
	v_add_f64 v[11:12], v[13:14], -v[9:10]
	;; [unrolled: 2-line block ×3, first 2 shown]
	v_add_f64 v[5:6], v[5:6], -v[11:12]
	v_add_f64 v[17:18], v[15:16], v[7:8]
	v_add_f64 v[9:10], v[9:10], -v[13:14]
	v_add_f64 v[11:12], v[17:18], -v[15:16]
	v_add_f64 v[5:6], v[5:6], v[9:10]
	v_add_f64 v[7:8], v[7:8], -v[11:12]
	v_add_f64 v[5:6], v[5:6], v[7:8]
	v_add_f64 v[7:8], v[17:18], v[5:6]
	v_add_f64 v[9:10], v[7:8], -v[17:18]
	v_mul_f64 v[11:12], v[3:4], v[7:8]
	v_add_f64 v[5:6], v[5:6], -v[9:10]
	v_fma_f64 v[7:8], v[3:4], v[7:8], -v[11:12]
	v_cmp_class_f64_e64 vcc, v[11:12], s34
	v_fma_f64 v[5:6], v[3:4], v[5:6], v[7:8]
	v_add_f64 v[7:8], v[11:12], v[5:6]
	v_cndmask_b32_e32 v10, v8, v12, vcc
	v_cndmask_b32_e32 v9, v7, v11, vcc
	v_mul_f64 v[13:14], v[9:10], s[4:5]
	s_mov_b32 s4, 0x6a5dcb37
	s_mov_b32 s5, 0x3e5ade15
	v_add_f64 v[7:8], v[7:8], -v[11:12]
	v_cmp_ngt_f64_e64 s[6:7], s[6:7], v[9:10]
	v_rndne_f64_e32 v[13:14], v[13:14]
	v_add_f64 v[5:6], v[5:6], -v[7:8]
	v_fma_f64 v[15:16], v[13:14], s[68:69], v[9:10]
	v_fma_f64 v[15:16], v[13:14], s[50:51], v[15:16]
	v_cvt_i32_f64_e32 v13, v[13:14]
	v_fma_f64 v[17:18], v[15:16], s[4:5], v[56:57]
	s_mov_b32 s4, 0x623fde64
	s_mov_b32 s5, 0x3ec71dee
	v_fma_f64 v[17:18], v[15:16], v[17:18], s[4:5]
	s_mov_b32 s4, 0x7c89e6b0
	s_mov_b32 s5, 0x3efa0199
	;; [unrolled: 3-line block ×9, first 2 shown]
	v_cmp_neq_f64_e64 vcc, |v[9:10]|, s[4:5]
	s_mov_b32 s4, 0
	s_mov_b32 s5, 0x40900000
	v_cmp_nlt_f64_e64 s[4:5], s[4:5], v[9:10]
	v_fma_f64 v[17:18], v[15:16], v[17:18], 1.0
	v_cndmask_b32_e32 v6, 0, v6, vcc
	v_cndmask_b32_e32 v5, 0, v5, vcc
	s_and_b64 vcc, s[6:7], s[4:5]
	v_fma_f64 v[15:16], v[15:16], v[17:18], 1.0
	v_mul_f64 v[17:18], v[3:4], 0.5
	v_ldexp_f64 v[11:12], v[15:16], v13
	v_trunc_f64_e32 v[13:14], v[3:4]
	v_trunc_f64_e32 v[15:16], v[17:18]
	v_cndmask_b32_e64 v7, v19, v12, s[4:5]
	v_cmp_eq_f64_e64 s[8:9], v[13:14], v[3:4]
	v_cmp_neq_f64_e64 s[10:11], v[15:16], v[17:18]
	v_cndmask_b32_e64 v8, 0, v7, s[6:7]
	v_cndmask_b32_e32 v7, 0, v11, vcc
	v_fma_f64 v[5:6], v[7:8], v[5:6], v[7:8]
	v_cmp_class_f64_e64 vcc, v[7:8], s34
	v_cmp_gt_f64_e64 s[4:5], 0, v[3:4]
	v_cmp_eq_f64_e64 s[6:7], 0, v[1:2]
	s_and_b64 s[10:11], s[8:9], s[10:11]
	v_cndmask_b32_e64 v3, v40, v2, s[10:11]
	v_cndmask_b32_e32 v4, v5, v7, vcc
	v_cndmask_b32_e32 v5, v6, v8, vcc
	v_bfi_b32 v3, s35, v5, v3
	v_cndmask_b32_e64 v5, v43, v3, s[8:9]
	v_cndmask_b32_e64 v6, 0, v4, s[8:9]
	v_cmp_gt_f64_e32 vcc, 0, v[1:2]
	v_cmp_class_f64_e64 s[8:9], v[1:2], s34
	s_xor_b64 s[4:5], s[4:5], s[6:7]
	v_cndmask_b32_e64 v7, v19, 0, s[4:5]
	v_cndmask_b32_e64 v8, 0, v2, s[10:11]
	v_bfi_b32 v7, s35, v7, v8
	s_add_i32 s4, s49, 1
	v_cndmask_b32_e32 v4, v4, v6, vcc
	v_cndmask_b32_e32 v3, v3, v5, vcc
	s_or_b64 vcc, s[6:7], s[8:9]
	v_cndmask_b32_e32 v3, v3, v7, vcc
	v_cndmask_b32_e64 v4, v4, 0, vcc
	v_cmp_o_f64_e32 vcc, v[1:2], v[1:2]
	v_cvt_f64_i32_e32 v[0:1], v0
	v_readlane_b32 s6, v62, 1
	v_readlane_b32 s7, v62, 2
	v_cndmask_b32_e32 v2, 0, v4, vcc
	v_cndmask_b32_e32 v3, v43, v3, vcc
	v_mul_f64 v[0:1], v[2:3], v[0:1]
	buffer_load_dword v2, off, s[0:3], s33 offset:620 ; 4-byte Folded Reload
	buffer_load_dword v3, off, s[0:3], s33 offset:624 ; 4-byte Folded Reload
	v_cmp_eq_u32_e32 vcc, s49, v44
	s_or_b64 s[6:7], vcc, s[6:7]
	s_mov_b32 s49, s4
	s_waitcnt vmcnt(0)
	v_fma_f64 v[0:1], v[46:47], v[0:1], v[2:3]
	s_andn2_b64 exec, exec, s[6:7]
	s_cbranch_execz .LBB0_248
.LBB0_244:                              ;   Parent Loop BB0_225 Depth=1
                                        ; =>  This Loop Header: Depth=2
                                        ;       Child Loop BB0_246 Depth 3
	v_writelane_b32 v62, s6, 1
	v_mov_b32_e32 v46, 0
	v_writelane_b32 v62, s7, 2
	v_mov_b32_e32 v47, 0
	buffer_store_dword v0, off, s[0:3], s33 offset:620 ; 4-byte Folded Spill
	s_nop 0
	buffer_store_dword v1, off, s[0:3], s33 offset:624 ; 4-byte Folded Spill
	s_mov_b64 s[6:7], exec
	buffer_load_dword v31, off, s[0:3], s33 offset:584 ; 4-byte Folded Reload
	v_readlane_b32 s4, v61, 7
	v_readlane_b32 s5, v61, 8
	s_and_b64 s[4:5], s[6:7], s[4:5]
	s_mov_b64 exec, s[4:5]
	s_cbranch_execz .LBB0_243
; %bb.245:                              ;   in Loop: Header=BB0_244 Depth=2
	buffer_load_dword v60, off, s[0:3], s33 offset:716 ; 4-byte Folded Reload
	v_writelane_b32 v62, s6, 3
	s_waitcnt vmcnt(4)
	buffer_store_dword v45, off, s[0:3], s33 offset:596 ; 4-byte Folded Spill
	buffer_load_dword v58, off, s[0:3], s33 offset:708 ; 4-byte Folded Reload
	buffer_load_dword v59, off, s[0:3], s33 offset:712 ; 4-byte Folded Reload
	v_mov_b32_e32 v46, 0
	s_mov_b32 s80, 0x1c7792ce
	s_mov_b32 s96, 0x9999999c
	v_readlane_b32 s82, v61, 53
	v_writelane_b32 v62, s7, 4
	v_mov_b32_e32 v47, 0
	s_mov_b32 s36, 0
	s_mov_b64 s[52:53], 0
	s_mov_b32 s81, 0x3fcc71c7
	s_mov_b32 s97, 0x3fd99999
	v_readlane_b32 s83, v61, 54
	s_waitcnt vmcnt(3)
	v_mov_b32_e32 v44, v60
.LBB0_246:                              ;   Parent Loop BB0_225 Depth=1
                                        ;     Parent Loop BB0_244 Depth=2
                                        ; =>    This Inner Loop Header: Depth=3
	buffer_load_dword v31, off, s[0:3], s33 offset:584 ; 4-byte Folded Reload
	s_getpc_b64 s[16:17]
	s_add_u32 s16, s16, _Z13cuda_binomialii@rel32@lo+4
	s_addc_u32 s17, s17, _Z13cuda_binomialii@rel32@hi+12
	s_mov_b64 s[4:5], s[46:47]
	s_mov_b64 s[6:7], s[30:31]
	s_mov_b64 s[8:9], s[94:95]
	s_mov_b64 s[10:11], s[92:93]
	s_mov_b32 s12, s90
	s_mov_b32 s13, s91
	;; [unrolled: 1-line block ×4, first 2 shown]
	v_mov_b32_e32 v0, v60
	v_mov_b32_e32 v1, s36
	s_swappc_b64 s[30:31], s[16:17]
	v_cvt_f64_i32_e32 v[2:3], v44
	s_mov_b32 s28, 0x4222de17
	s_mov_b32 s29, 0x3fbdee67
	;; [unrolled: 1-line block ×3, first 2 shown]
	v_cndmask_b32_e64 v5, v3, v40, s[82:83]
	v_cndmask_b32_e64 v4, v2, 0, s[82:83]
	v_cmp_neq_f64_e32 vcc, 0, v[4:5]
	s_mov_b32 s4, 0x652b82fe
	s_mov_b32 s5, 0x3ff71547
	;; [unrolled: 1-line block ×7, first 2 shown]
	v_cndmask_b32_e32 v3, v40, v59, vcc
	v_cndmask_b32_e32 v2, 0, v58, vcc
	v_frexp_mant_f64_e64 v[6:7], |v[2:3]|
	v_frexp_exp_i32_f64_e32 v8, v[2:3]
	s_mov_b32 s9, 0x3ec71dee
	s_mov_b32 s10, 0x7c89e6b0
	;; [unrolled: 1-line block ×6, first 2 shown]
	v_cmp_gt_f64_e32 vcc, s[54:55], v[6:7]
	s_mov_b32 s15, 0x3f56c16c
	s_mov_b32 s16, 0x11122322
	;; [unrolled: 1-line block ×7, first 2 shown]
	v_cndmask_b32_e64 v9, 0, 1, vcc
	v_ldexp_f64 v[6:7], v[6:7], v9
	v_subbrev_co_u32_e32 v24, vcc, 0, v8, vcc
	s_mov_b32 s22, 11
	s_mov_b32 s23, 0x3fe00000
	;; [unrolled: 1-line block ×5, first 2 shown]
	v_add_f64 v[10:11], v[6:7], 1.0
	v_add_f64 v[8:9], v[6:7], -1.0
	s_mov_b32 s25, 0x40900000
	v_mov_b32_e32 v28, 0x7ff00000
	v_cvt_f64_i32_e32 v[0:1], v0
	buffer_load_dword v31, off, s[0:3], s33 offset:584 ; 4-byte Folded Reload
	v_add_u32_e32 v44, -1, v44
	v_readlane_b32 s46, v61, 0
	v_add_f64 v[12:13], v[10:11], -1.0
	s_add_i32 s36, s36, 1
	v_readlane_b32 s47, v61, 1
	s_mov_b64 s[30:31], s[66:67]
	s_mov_b64 s[94:95], s[70:71]
	;; [unrolled: 1-line block ×3, first 2 shown]
	s_mov_b32 s91, s48
	s_mov_b32 s90, s39
	v_add_f64 v[6:7], v[6:7], -v[12:13]
	v_rcp_f64_e32 v[12:13], v[10:11]
	s_mov_b32 s89, s38
	v_fma_f64 v[14:15], -v[10:11], v[12:13], 1.0
	v_fma_f64 v[12:13], v[14:15], v[12:13], v[12:13]
	v_fma_f64 v[14:15], -v[10:11], v[12:13], 1.0
	v_fma_f64 v[12:13], v[14:15], v[12:13], v[12:13]
	v_mul_f64 v[14:15], v[8:9], v[12:13]
	v_mul_f64 v[16:17], v[10:11], v[14:15]
	v_fma_f64 v[10:11], v[14:15], v[10:11], -v[16:17]
	v_fma_f64 v[6:7], v[14:15], v[6:7], v[10:11]
	v_add_f64 v[10:11], v[16:17], v[6:7]
	v_add_f64 v[18:19], v[8:9], -v[10:11]
	v_add_f64 v[16:17], v[10:11], -v[16:17]
	;; [unrolled: 1-line block ×5, first 2 shown]
	v_add_f64 v[6:7], v[6:7], v[8:9]
	v_add_f64 v[6:7], v[18:19], v[6:7]
	v_mul_f64 v[6:7], v[12:13], v[6:7]
	v_add_f64 v[16:17], v[14:15], v[6:7]
	v_add_f64 v[8:9], v[16:17], -v[14:15]
	v_ldexp_f64 v[12:13], v[16:17], 1
	v_add_f64 v[14:15], v[6:7], -v[8:9]
	v_mul_f64 v[6:7], v[16:17], v[16:17]
	v_add_f64 v[10:11], v[14:15], v[14:15]
	v_fma_f64 v[8:9], v[16:17], v[16:17], -v[6:7]
	v_fma_f64 v[8:9], v[16:17], v[10:11], v[8:9]
	v_add_f64 v[18:19], v[6:7], v[8:9]
	v_add_f64 v[6:7], v[18:19], -v[6:7]
	v_add_f64 v[20:21], v[8:9], -v[6:7]
	v_fma_f64 v[6:7], v[18:19], s[28:29], v[41:42]
	s_mov_b32 s28, 0x3abe935a
	s_mov_b32 s29, 0x3fbe25e4
	v_fma_f64 v[6:7], v[18:19], v[6:7], s[28:29]
	s_mov_b32 s28, 0x47e6c9c2
	s_mov_b32 s29, 0x3fc110ef
	v_fma_f64 v[6:7], v[18:19], v[6:7], s[28:29]
	s_mov_b32 s28, 0xcfa74449
	s_mov_b32 s29, 0x3fc3b13b
	v_fma_f64 v[6:7], v[18:19], v[6:7], s[28:29]
	s_mov_b32 s28, 0x71bf3c30
	s_mov_b32 s29, 0x3fc745d1
	v_fma_f64 v[6:7], v[18:19], v[6:7], s[28:29]
	s_mov_b32 s28, 0x924920da
	s_mov_b32 s29, 0x3fd24924
	v_fma_f64 v[6:7], v[18:19], v[6:7], s[80:81]
	v_fma_f64 v[6:7], v[18:19], v[6:7], s[28:29]
	s_mov_b32 s28, 0xd5df274d
	s_mov_b32 s29, 0x3c8543b0
	v_fma_f64 v[22:23], v[18:19], v[6:7], s[96:97]
	v_cvt_f64_i32_e32 v[6:7], v24
	v_mul_f64 v[24:25], v[16:17], v[18:19]
	v_mul_f64 v[10:11], v[6:7], s[84:85]
	v_fma_f64 v[26:27], v[18:19], v[16:17], -v[24:25]
	v_fma_f64 v[8:9], v[6:7], s[84:85], -v[10:11]
	v_fma_f64 v[6:7], v[6:7], s[98:99], v[8:9]
	v_add_f64 v[8:9], v[10:11], v[6:7]
	v_add_f64 v[10:11], v[8:9], -v[10:11]
	v_add_f64 v[6:7], v[6:7], -v[10:11]
	v_ldexp_f64 v[10:11], v[14:15], 1
	v_fma_f64 v[14:15], v[18:19], v[14:15], v[26:27]
	v_fma_f64 v[16:17], v[20:21], v[16:17], v[14:15]
	v_add_f64 v[14:15], v[24:25], v[16:17]
	v_add_f64 v[24:25], v[14:15], -v[24:25]
	v_add_f64 v[16:17], v[16:17], -v[24:25]
	v_mul_f64 v[24:25], v[18:19], v[22:23]
	v_fma_f64 v[18:19], v[18:19], v[22:23], -v[24:25]
	v_fma_f64 v[18:19], v[20:21], v[22:23], v[18:19]
	v_add_f64 v[20:21], v[24:25], v[18:19]
	v_add_f64 v[22:23], v[20:21], -v[24:25]
	v_add_f64 v[22:23], v[18:19], -v[22:23]
	v_add_f64 v[18:19], v[20:21], s[54:55]
	v_add_f64 v[22:23], v[22:23], s[28:29]
	;; [unrolled: 1-line block ×3, first 2 shown]
	s_mov_b32 s28, 0
	s_mov_b32 s29, 0x7ff00000
	v_add_f64 v[20:21], v[20:21], -v[24:25]
	v_add_f64 v[20:21], v[22:23], v[20:21]
	v_add_f64 v[22:23], v[18:19], v[20:21]
	v_add_f64 v[18:19], v[18:19], -v[22:23]
	v_add_f64 v[18:19], v[20:21], v[18:19]
	v_mul_f64 v[20:21], v[14:15], v[22:23]
	v_fma_f64 v[24:25], v[14:15], v[22:23], -v[20:21]
	v_fma_f64 v[14:15], v[14:15], v[18:19], v[24:25]
	v_fma_f64 v[14:15], v[16:17], v[22:23], v[14:15]
	v_add_f64 v[16:17], v[20:21], v[14:15]
	v_add_f64 v[18:19], v[16:17], -v[20:21]
	v_add_f64 v[14:15], v[14:15], -v[18:19]
	v_add_f64 v[18:19], v[12:13], v[16:17]
	v_add_f64 v[10:11], v[10:11], v[14:15]
	v_add_f64 v[12:13], v[18:19], -v[12:13]
	v_add_f64 v[12:13], v[16:17], -v[12:13]
	v_add_f64 v[10:11], v[10:11], v[12:13]
	;; [unrolled: 4-line block ×3, first 2 shown]
	v_add_f64 v[16:17], v[14:15], -v[8:9]
	v_add_f64 v[18:19], v[14:15], -v[16:17]
	;; [unrolled: 1-line block ×4, first 2 shown]
	v_add_f64 v[8:9], v[12:13], v[8:9]
	v_add_f64 v[12:13], v[6:7], v[10:11]
	v_add_f64 v[16:17], v[12:13], -v[6:7]
	v_add_f64 v[8:9], v[12:13], v[8:9]
	v_add_f64 v[18:19], v[12:13], -v[16:17]
	v_add_f64 v[10:11], v[10:11], -v[16:17]
	;; [unrolled: 1-line block ×3, first 2 shown]
	v_add_f64 v[6:7], v[10:11], v[6:7]
	v_add_f64 v[10:11], v[14:15], v[8:9]
	v_add_f64 v[12:13], v[10:11], -v[14:15]
	v_add_f64 v[8:9], v[8:9], -v[12:13]
	v_add_f64 v[6:7], v[6:7], v[8:9]
	v_add_f64 v[8:9], v[10:11], v[6:7]
	v_add_f64 v[10:11], v[8:9], -v[10:11]
	v_add_f64 v[6:7], v[6:7], -v[10:11]
	v_mul_f64 v[10:11], v[4:5], v[8:9]
	v_fma_f64 v[8:9], v[4:5], v[8:9], -v[10:11]
	v_cmp_class_f64_e64 vcc, v[10:11], s34
	v_fma_f64 v[6:7], v[4:5], v[6:7], v[8:9]
	v_add_f64 v[8:9], v[10:11], v[6:7]
	v_add_f64 v[12:13], v[8:9], -v[10:11]
	v_cndmask_b32_e32 v9, v9, v11, vcc
	v_cndmask_b32_e32 v8, v8, v10, vcc
	v_mul_f64 v[10:11], v[8:9], s[4:5]
	v_cmp_neq_f64_e64 vcc, |v[8:9]|, s[28:29]
	v_cmp_ngt_f64_e64 s[4:5], s[26:27], v[8:9]
	v_add_f64 v[6:7], v[6:7], -v[12:13]
	v_rndne_f64_e32 v[10:11], v[10:11]
	v_cndmask_b32_e32 v7, 0, v7, vcc
	v_cndmask_b32_e32 v6, 0, v6, vcc
	v_cmp_nlt_f64_e32 vcc, s[24:25], v[8:9]
	v_fma_f64 v[12:13], v[10:11], s[68:69], v[8:9]
	v_fma_f64 v[12:13], v[10:11], s[50:51], v[12:13]
	v_cvt_i32_f64_e32 v10, v[10:11]
	v_fma_f64 v[14:15], v[12:13], s[6:7], v[56:57]
	v_cmp_gt_f64_e64 s[6:7], 0, v[2:3]
	v_fma_f64 v[14:15], v[12:13], v[14:15], s[8:9]
	v_cmp_gt_f64_e64 s[8:9], 0, v[4:5]
	v_fma_f64 v[14:15], v[12:13], v[14:15], s[10:11]
	v_fma_f64 v[14:15], v[12:13], v[14:15], s[12:13]
	;; [unrolled: 1-line block ×7, first 2 shown]
	v_fma_f64 v[14:15], v[12:13], v[14:15], 1.0
	v_fma_f64 v[12:13], v[12:13], v[14:15], 1.0
	v_ldexp_f64 v[10:11], v[12:13], v10
	v_cndmask_b32_e32 v11, v28, v11, vcc
	s_and_b64 vcc, s[4:5], vcc
	v_cndmask_b32_e32 v8, 0, v10, vcc
	v_cndmask_b32_e64 v9, 0, v11, s[4:5]
	v_fma_f64 v[6:7], v[8:9], v[6:7], v[8:9]
	v_cmp_class_f64_e64 vcc, v[8:9], s34
	v_cndmask_b32_e32 v10, v6, v8, vcc
	v_cndmask_b32_e32 v11, v7, v9, vcc
	v_trunc_f64_e32 v[6:7], v[4:5]
	v_cmp_eq_f64_e32 vcc, v[6:7], v[4:5]
	v_mul_f64 v[6:7], v[4:5], 0.5
	v_trunc_f64_e32 v[8:9], v[6:7]
	v_cmp_neq_f64_e64 s[4:5], v[8:9], v[6:7]
	v_cndmask_b32_e32 v8, 0, v10, vcc
	v_cndmask_b32_e64 v8, v10, v8, s[6:7]
	s_and_b64 s[4:5], vcc, s[4:5]
	v_cndmask_b32_e64 v6, v40, v3, s[4:5]
	v_bfi_b32 v6, s35, v11, v6
	v_cndmask_b32_e32 v7, v43, v6, vcc
	v_cndmask_b32_e64 v6, v6, v7, s[6:7]
	v_cmp_class_f64_e64 s[6:7], v[2:3], s34
	v_cmp_eq_f64_e32 vcc, 0, v[2:3]
	v_cndmask_b32_e64 v5, 0, v3, s[4:5]
	s_or_b64 s[6:7], vcc, s[6:7]
	s_xor_b64 s[8:9], s[8:9], vcc
	v_cmp_o_f64_e32 vcc, v[2:3], v[2:3]
	v_cndmask_b32_e64 v4, v28, 0, s[8:9]
	v_bfi_b32 v4, s35, v4, v5
	v_cndmask_b32_e64 v4, v6, v4, s[6:7]
	v_cndmask_b32_e64 v5, v8, 0, s[6:7]
	v_cndmask_b32_e32 v2, 0, v5, vcc
	v_cndmask_b32_e32 v3, v43, v4, vcc
	v_mul_f64 v[0:1], v[2:3], v[0:1]
	buffer_load_dword v2, v45, s[0:3], 0 offen
	buffer_load_dword v3, v45, s[0:3], 0 offen offset:4
	v_cmp_eq_u32_e32 vcc, -1, v44
	v_add_u32_e32 v45, 56, v45
	s_or_b64 s[52:53], vcc, s[52:53]
	s_waitcnt vmcnt(0)
	v_fma_f64 v[46:47], v[2:3], v[0:1], v[46:47]
	s_andn2_b64 exec, exec, s[52:53]
	s_cbranch_execnz .LBB0_246
; %bb.247:                              ;   in Loop: Header=BB0_244 Depth=2
	s_or_b64 exec, exec, s[52:53]
	buffer_load_dword v45, off, s[0:3], s33 offset:596 ; 4-byte Folded Reload
	s_mov_b32 s52, 0x3abe935a
	s_mov_b32 s80, 0x47e6c9c2
	;; [unrolled: 1-line block ×4, first 2 shown]
	v_readlane_b32 s6, v62, 3
	s_mov_b32 s53, 0x3fbe25e4
	s_mov_b32 s81, 0x3fc110ef
	;; [unrolled: 1-line block ×4, first 2 shown]
	v_readlane_b32 s7, v62, 4
	s_branch .LBB0_243
.LBB0_248:                              ;   in Loop: Header=BB0_225 Depth=1
	s_or_b64 exec, exec, s[6:7]
	buffer_load_dword v15, off, s[0:3], s33 offset:588 ; 4-byte Folded Reload
	buffer_load_dword v18, off, s[0:3], s33 offset:796 ; 4-byte Folded Reload
	;; [unrolled: 1-line block ×15, first 2 shown]
	v_readlane_b32 s16, v61, 47
	v_readlane_b32 s18, v61, 49
	;; [unrolled: 1-line block ×8, first 2 shown]
.LBB0_249:                              ;   in Loop: Header=BB0_225 Depth=1
	s_or_b64 exec, exec, s[6:7]
	buffer_store_dword v0, off, s[0:3], s33 offset:620 ; 4-byte Folded Spill
	s_nop 0
	buffer_store_dword v1, off, s[0:3], s33 offset:624 ; 4-byte Folded Spill
	buffer_load_dword v0, off, s[0:3], s33 offset:924 ; 4-byte Folded Reload
	s_nop 0
	buffer_load_dword v1, off, s[0:3], s33 offset:928 ; 4-byte Folded Reload
	buffer_load_dword v2, off, s[0:3], s33 offset:852 ; 4-byte Folded Reload
	;; [unrolled: 1-line block ×3, first 2 shown]
	s_waitcnt vmcnt(2)
	v_mul_f64 v[0:1], v[0:1], v[16:17]
	v_add_f64 v[0:1], v[0:1], v[0:1]
	s_waitcnt vmcnt(0)
	v_fma_f64 v[2:3], v[2:3], v[31:32], v[0:1]
	buffer_load_dword v0, off, s[0:3], s33 offset:756 ; 4-byte Folded Reload
	buffer_load_dword v1, off, s[0:3], s33 offset:760 ; 4-byte Folded Reload
	s_waitcnt vmcnt(0)
	buffer_store_dword v1, off, s[0:3], s33 offset:196
	buffer_store_dword v0, off, s[0:3], s33 offset:192
	s_mov_b64 s[4:5], exec
	v_readlane_b32 s6, v61, 29
	v_readlane_b32 s7, v61, 30
	s_and_b64 s[6:7], s[4:5], s[6:7]
	s_mov_b64 exec, s[6:7]
	s_cbranch_execz .LBB0_251
; %bb.250:                              ;   in Loop: Header=BB0_225 Depth=1
	buffer_load_dword v0, off, s[0:3], s33 offset:756 ; 4-byte Folded Reload
	buffer_load_dword v1, off, s[0:3], s33 offset:760 ; 4-byte Folded Reload
	s_waitcnt vmcnt(0)
	v_mul_f64 v[0:1], v[0:1], v[2:3]
	buffer_store_dword v1, off, s[0:3], s33 offset:252
	buffer_store_dword v0, off, s[0:3], s33 offset:248
.LBB0_251:                              ;   in Loop: Header=BB0_225 Depth=1
	s_or_b64 exec, exec, s[4:5]
	buffer_load_dword v0, off, s[0:3], s33 offset:900 ; 4-byte Folded Reload
	buffer_load_dword v1, off, s[0:3], s33 offset:904 ; 4-byte Folded Reload
	;; [unrolled: 1-line block ×4, first 2 shown]
	s_waitcnt vmcnt(2)
	v_mul_f64 v[0:1], v[0:1], v[16:17]
	v_add_f64 v[0:1], v[0:1], v[0:1]
	s_waitcnt vmcnt(0)
	v_fma_f64 v[0:1], v[4:5], v[31:32], v[0:1]
	s_mov_b64 s[4:5], exec
	v_readlane_b32 s6, v61, 31
	v_readlane_b32 s7, v61, 32
	s_and_b64 s[6:7], s[4:5], s[6:7]
	s_mov_b64 exec, s[6:7]
	s_cbranch_execz .LBB0_253
; %bb.252:                              ;   in Loop: Header=BB0_225 Depth=1
	buffer_load_dword v4, off, s[0:3], s33 offset:756 ; 4-byte Folded Reload
	buffer_load_dword v5, off, s[0:3], s33 offset:760 ; 4-byte Folded Reload
	s_waitcnt vmcnt(0)
	v_mul_f64 v[4:5], v[4:5], v[0:1]
	buffer_store_dword v5, off, s[0:3], s33 offset:204
	buffer_store_dword v4, off, s[0:3], s33 offset:200
.LBB0_253:                              ;   in Loop: Header=BB0_225 Depth=1
	s_or_b64 exec, exec, s[4:5]
	s_mov_b64 s[4:5], exec
	v_readlane_b32 s6, v61, 19
	v_readlane_b32 s7, v61, 20
	s_and_b64 s[6:7], s[4:5], s[6:7]
	s_mov_b64 exec, s[6:7]
	s_cbranch_execz .LBB0_256
; %bb.254:                              ;   in Loop: Header=BB0_225 Depth=1
	buffer_load_dword v4, off, s[0:3], s33 offset:248
	buffer_load_dword v5, off, s[0:3], s33 offset:252
	s_lshr_b32 s8, s33, 6
	s_addk_i32 s8, 0xc0
	s_mov_b32 s9, 1
	s_mov_b64 s[6:7], 0
.LBB0_255:                              ;   Parent Loop BB0_225 Depth=1
                                        ; =>  This Inner Loop Header: Depth=2
	v_mov_b32_e32 v10, s8
	buffer_load_dword v6, v10, s[0:3], 0 offen
	buffer_load_dword v7, v10, s[0:3], 0 offen offset:4
	v_cvt_f64_i32_e32 v[8:9], s9
	s_add_i32 s9, s9, 1
	s_add_i32 s8, s8, 56
	v_cmp_eq_u32_e32 vcc, s9, v20
	v_mul_f64 v[8:9], v[33:34], v[8:9]
	s_or_b64 s[6:7], vcc, s[6:7]
	s_waitcnt vmcnt(0)
	v_mul_f64 v[6:7], v[6:7], v[8:9]
	v_fma_f64 v[4:5], v[2:3], v[4:5], v[6:7]
	buffer_store_dword v5, v10, s[0:3], 0 offen offset:116
	buffer_store_dword v4, v10, s[0:3], 0 offen offset:112
	s_andn2_b64 exec, exec, s[6:7]
	s_cbranch_execnz .LBB0_255
.LBB0_256:                              ;   in Loop: Header=BB0_225 Depth=1
	s_or_b64 exec, exec, s[4:5]
	s_and_saveexec_b64 s[4:5], s[18:19]
	s_cbranch_execz .LBB0_259
; %bb.257:                              ;   in Loop: Header=BB0_225 Depth=1
	buffer_load_dword v2, off, s[0:3], s33 offset:200
	buffer_load_dword v3, off, s[0:3], s33 offset:204
	s_lshr_b32 s8, s33, 6
	s_addk_i32 s8, 0xc0
	s_mov_b32 s9, 1
	s_mov_b64 s[6:7], 0
.LBB0_258:                              ;   Parent Loop BB0_225 Depth=1
                                        ; =>  This Inner Loop Header: Depth=2
	v_mov_b32_e32 v8, s8
	buffer_load_dword v4, v8, s[0:3], 0 offen
	buffer_load_dword v5, v8, s[0:3], 0 offen offset:4
	v_cvt_f64_i32_e32 v[6:7], s9
	s_add_i32 s9, s9, 1
	s_add_i32 s8, s8, 8
	v_cmp_eq_u32_e32 vcc, s9, v21
	v_mul_f64 v[6:7], v[29:30], v[6:7]
	s_or_b64 s[6:7], vcc, s[6:7]
	s_waitcnt vmcnt(0)
	v_mul_f64 v[4:5], v[4:5], v[6:7]
	v_fma_f64 v[2:3], v[0:1], v[2:3], v[4:5]
	buffer_store_dword v3, v8, s[0:3], 0 offen offset:20
	buffer_store_dword v2, v8, s[0:3], 0 offen offset:16
	s_andn2_b64 exec, exec, s[6:7]
	s_cbranch_execnz .LBB0_258
.LBB0_259:                              ;   in Loop: Header=BB0_225 Depth=1
	s_or_b64 exec, exec, s[4:5]
	s_mov_b64 s[4:5], exec
	v_readlane_b32 s6, v61, 33
	v_readlane_b32 s7, v61, 34
	s_and_b64 s[6:7], s[4:5], s[6:7]
	s_mov_b64 exec, s[6:7]
	s_cbranch_execz .LBB0_265
; %bb.260:                              ;   in Loop: Header=BB0_225 Depth=1
	v_mov_b32_e32 v2, 0
	s_mov_b32 s13, 1
	s_mov_b64 s[6:7], 0
	v_mov_b32_e32 v3, 0x3ff00000
	v_readlane_b32 s12, v61, 4
	s_branch .LBB0_262
.LBB0_261:                              ;   in Loop: Header=BB0_262 Depth=2
	s_or_b64 exec, exec, s[8:9]
	v_add_f64 v[2:3], v[2:3], 1.0
	s_add_i32 s8, s13, 1
	s_add_i32 s12, s12, 56
	v_cmp_eq_u32_e32 vcc, s13, v20
	s_or_b64 s[6:7], vcc, s[6:7]
	s_mov_b32 s13, s8
	s_andn2_b64 exec, exec, s[6:7]
	s_cbranch_execz .LBB0_265
.LBB0_262:                              ;   Parent Loop BB0_225 Depth=1
                                        ; =>  This Loop Header: Depth=2
                                        ;       Child Loop BB0_264 Depth 3
	s_mul_i32 s8, s13, 56
	s_lshr_b32 s9, s33, 6
	s_add_i32 s8, s9, s8
	s_addk_i32 s8, 0xc0
	v_mov_b32_e32 v10, s8
	buffer_load_dword v6, v10, s[0:3], 0 offen
	buffer_load_dword v7, v10, s[0:3], 0 offen offset:4
	s_sub_i32 s8, s8, 56
	v_mov_b32_e32 v4, s8
	buffer_load_dword v8, v4, s[0:3], 0 offen
	buffer_load_dword v9, v4, s[0:3], 0 offen offset:4
	v_mul_f64 v[4:5], v[16:17], v[2:3]
	s_waitcnt vmcnt(2)
	v_mul_f64 v[6:7], v[0:1], v[6:7]
	s_waitcnt vmcnt(0)
	v_fma_f64 v[6:7], v[8:9], v[4:5], v[6:7]
	buffer_store_dword v7, v10, s[0:3], 0 offen offset:12
	buffer_store_dword v6, v10, s[0:3], 0 offen offset:8
	s_and_saveexec_b64 s[8:9], s[18:19]
	s_cbranch_execz .LBB0_261
; %bb.263:                              ;   in Loop: Header=BB0_262 Depth=2
	s_mov_b32 s14, 1
	s_mov_b64 s[10:11], 0
	s_mov_b32 s15, s12
.LBB0_264:                              ;   Parent Loop BB0_225 Depth=1
                                        ;     Parent Loop BB0_262 Depth=2
                                        ; =>    This Inner Loop Header: Depth=3
	v_mov_b32_e32 v14, s15
	buffer_load_dword v8, v14, s[0:3], 0 offen offset:48
	buffer_load_dword v9, v14, s[0:3], 0 offen offset:52
	buffer_load_dword v10, v14, s[0:3], 0 offen
	buffer_load_dword v11, v14, s[0:3], 0 offen offset:4
	v_cvt_f64_i32_e32 v[12:13], s14
	s_add_i32 s14, s14, 1
	s_add_i32 s15, s15, 8
	v_cmp_eq_u32_e32 vcc, s14, v21
	v_mul_f64 v[12:13], v[29:30], v[12:13]
	s_or_b64 s[10:11], vcc, s[10:11]
	s_waitcnt vmcnt(2)
	v_mul_f64 v[8:9], v[8:9], v[12:13]
	s_waitcnt vmcnt(0)
	v_fma_f64 v[8:9], v[4:5], v[10:11], v[8:9]
	v_fma_f64 v[6:7], v[0:1], v[6:7], v[8:9]
	buffer_store_dword v7, v14, s[0:3], 0 offen offset:68
	buffer_store_dword v6, v14, s[0:3], 0 offen offset:64
	s_andn2_b64 exec, exec, s[10:11]
	s_cbranch_execnz .LBB0_264
	s_branch .LBB0_261
.LBB0_265:                              ;   in Loop: Header=BB0_225 Depth=1
	s_or_b64 exec, exec, s[4:5]
	v_mov_b32_e32 v35, 0
	v_mov_b32_e32 v36, 0
	s_mov_b64 s[6:7], exec
	v_readlane_b32 s4, v61, 9
	v_readlane_b32 s5, v61, 10
	s_and_b64 s[4:5], s[6:7], s[4:5]
	buffer_store_dword v41, off, s[0:3], s33 offset:596 ; 4-byte Folded Spill
	s_nop 0
	buffer_store_dword v42, off, s[0:3], s33 offset:600 ; 4-byte Folded Spill
	buffer_store_dword v56, off, s[0:3], s33 offset:612 ; 4-byte Folded Spill
	s_nop 0
	buffer_store_dword v57, off, s[0:3], s33 offset:616 ; 4-byte Folded Spill
	s_mov_b64 exec, s[4:5]
	s_cbranch_execz .LBB0_273
; %bb.266:                              ;   in Loop: Header=BB0_225 Depth=1
	buffer_load_dword v60, off, s[0:3], s33 offset:960 ; 4-byte Folded Reload
	v_writelane_b32 v61, s6, 63
	v_mov_b32_e32 v35, 0
	v_writelane_b32 v62, s7, 0
	v_mov_b32_e32 v36, 0
	s_mov_b32 s49, 0
	s_mov_b64 s[6:7], 0
	s_branch .LBB0_268
.LBB0_267:                              ;   in Loop: Header=BB0_268 Depth=2
	s_or_b64 exec, exec, s[6:7]
	buffer_load_dword v44, off, s[0:3], s33 offset:648 ; 4-byte Folded Reload
	s_getpc_b64 s[16:17]
	s_add_u32 s16, s16, _Z13cuda_binomialii@rel32@lo+4
	s_addc_u32 s17, s17, _Z13cuda_binomialii@rel32@hi+12
	s_mov_b64 s[4:5], s[46:47]
	s_mov_b64 s[6:7], s[30:31]
	;; [unrolled: 1-line block ×4, first 2 shown]
	s_mov_b32 s12, s90
	s_mov_b32 s13, s91
	s_mov_b32 s14, s37
	s_mov_b32 s15, s89
	v_mov_b32_e32 v1, s49
	s_waitcnt vmcnt(0)
	v_mov_b32_e32 v0, v44
	s_swappc_b64 s[30:31], s[16:17]
	v_subrev_u32_e32 v1, s49, v44
	v_cvt_f64_i32_e32 v[1:2], v1
	v_readlane_b32 s4, v61, 43
	v_readlane_b32 s5, v61, 44
	s_mov_b32 s86, s54
	v_cndmask_b32_e64 v4, v2, v40, s[4:5]
	v_cndmask_b32_e64 v3, v1, 0, s[4:5]
	buffer_load_dword v1, off, s[0:3], s33 offset:660 ; 4-byte Folded Reload
	buffer_load_dword v2, off, s[0:3], s33 offset:664 ; 4-byte Folded Reload
	v_cmp_neq_f64_e32 vcc, 0, v[3:4]
	buffer_load_dword v41, off, s[0:3], s33 offset:596 ; 4-byte Folded Reload
	buffer_load_dword v42, off, s[0:3], s33 offset:600 ; 4-byte Folded Reload
	s_mov_b32 s4, 0x4222de17
	s_mov_b32 s5, 0x3fbdee67
	buffer_load_dword v56, off, s[0:3], s33 offset:612 ; 4-byte Folded Reload
	buffer_load_dword v57, off, s[0:3], s33 offset:616 ; 4-byte Folded Reload
	s_mov_b32 s68, s84
	s_mov_b32 s50, s98
	;; [unrolled: 4-line block ×3, first 2 shown]
	v_readlane_b32 s46, v61, 0
	v_readlane_b32 s47, v61, 1
	s_mov_b64 s[30:31], s[66:67]
	s_mov_b64 s[94:95], s[70:71]
	;; [unrolled: 1-line block ×3, first 2 shown]
	s_mov_b32 s91, s48
	s_mov_b32 s90, s39
	;; [unrolled: 1-line block ×3, first 2 shown]
	v_add_u32_e32 v60, 8, v60
	s_waitcnt vmcnt(7)
	v_cndmask_b32_e32 v1, 0, v1, vcc
	s_waitcnt vmcnt(6)
	v_cndmask_b32_e32 v2, v40, v2, vcc
	v_frexp_mant_f64_e64 v[5:6], |v[1:2]|
	v_cmp_gt_f64_e32 vcc, s[54:55], v[5:6]
	v_cndmask_b32_e64 v7, 0, 1, vcc
	v_ldexp_f64 v[5:6], v[5:6], v7
	v_add_f64 v[7:8], v[5:6], 1.0
	v_add_f64 v[13:14], v[5:6], -1.0
	v_rcp_f64_e32 v[9:10], v[7:8]
	v_add_f64 v[15:16], v[7:8], -1.0
	v_add_f64 v[5:6], v[5:6], -v[15:16]
	v_fma_f64 v[11:12], -v[7:8], v[9:10], 1.0
	v_fma_f64 v[9:10], v[11:12], v[9:10], v[9:10]
	v_fma_f64 v[11:12], -v[7:8], v[9:10], 1.0
	v_fma_f64 v[9:10], v[11:12], v[9:10], v[9:10]
	v_mul_f64 v[11:12], v[13:14], v[9:10]
	v_mul_f64 v[17:18], v[7:8], v[11:12]
	v_fma_f64 v[7:8], v[11:12], v[7:8], -v[17:18]
	v_fma_f64 v[5:6], v[11:12], v[5:6], v[7:8]
	v_add_f64 v[7:8], v[17:18], v[5:6]
	v_add_f64 v[15:16], v[13:14], -v[7:8]
	v_add_f64 v[17:18], v[7:8], -v[17:18]
	;; [unrolled: 1-line block ×5, first 2 shown]
	v_add_f64 v[5:6], v[5:6], v[7:8]
	v_add_f64 v[5:6], v[15:16], v[5:6]
	v_mul_f64 v[5:6], v[9:10], v[5:6]
	v_add_f64 v[7:8], v[11:12], v[5:6]
	v_add_f64 v[9:10], v[7:8], -v[11:12]
	v_mul_f64 v[11:12], v[7:8], v[7:8]
	v_add_f64 v[5:6], v[5:6], -v[9:10]
	v_fma_f64 v[9:10], v[7:8], v[7:8], -v[11:12]
	v_add_f64 v[13:14], v[5:6], v[5:6]
	v_fma_f64 v[9:10], v[7:8], v[13:14], v[9:10]
	v_add_f64 v[13:14], v[11:12], v[9:10]
	s_waitcnt vmcnt(4)
	v_fma_f64 v[15:16], v[13:14], s[4:5], v[41:42]
	s_mov_b32 s4, 0x1c7792ce
	s_mov_b32 s5, 0x3fcc71c7
	v_add_f64 v[11:12], v[13:14], -v[11:12]
	v_mul_f64 v[21:22], v[7:8], v[13:14]
	v_fma_f64 v[15:16], v[13:14], v[15:16], s[52:53]
	v_add_f64 v[9:10], v[9:10], -v[11:12]
	v_fma_f64 v[15:16], v[13:14], v[15:16], s[80:81]
	v_fma_f64 v[15:16], v[13:14], v[15:16], s[82:83]
	;; [unrolled: 1-line block ×4, first 2 shown]
	s_mov_b32 s4, 0x924920da
	s_mov_b32 s5, 0x3fd24924
	v_fma_f64 v[15:16], v[13:14], v[15:16], s[4:5]
	s_mov_b32 s4, 0x9999999c
	s_mov_b32 s5, 0x3fd99999
	v_fma_f64 v[15:16], v[13:14], v[15:16], s[4:5]
	s_mov_b32 s4, 0xd5df274d
	s_mov_b32 s5, 0x3c8543b0
	v_mul_f64 v[17:18], v[13:14], v[15:16]
	v_fma_f64 v[11:12], v[13:14], v[15:16], -v[17:18]
	v_fma_f64 v[11:12], v[9:10], v[15:16], v[11:12]
	v_add_f64 v[15:16], v[17:18], v[11:12]
	v_add_f64 v[19:20], v[15:16], s[54:55]
	v_add_f64 v[17:18], v[15:16], -v[17:18]
	v_add_f64 v[23:24], v[19:20], s[86:87]
	v_add_f64 v[11:12], v[11:12], -v[17:18]
	v_fma_f64 v[17:18], v[13:14], v[7:8], -v[21:22]
	v_add_f64 v[15:16], v[15:16], -v[23:24]
	v_add_f64 v[11:12], v[11:12], s[4:5]
	v_fma_f64 v[13:14], v[13:14], v[5:6], v[17:18]
	v_ldexp_f64 v[5:6], v[5:6], 1
	s_mov_b32 s4, 0x652b82fe
	s_mov_b32 s5, 0x3ff71547
	v_add_f64 v[11:12], v[11:12], v[15:16]
	v_fma_f64 v[9:10], v[9:10], v[7:8], v[13:14]
	v_ldexp_f64 v[7:8], v[7:8], 1
	v_add_f64 v[13:14], v[19:20], v[11:12]
	v_add_f64 v[15:16], v[21:22], v[9:10]
	v_add_f64 v[17:18], v[19:20], -v[13:14]
	v_mul_f64 v[19:20], v[15:16], v[13:14]
	v_add_f64 v[21:22], v[15:16], -v[21:22]
	v_add_f64 v[11:12], v[11:12], v[17:18]
	v_fma_f64 v[17:18], v[15:16], v[13:14], -v[19:20]
	v_add_f64 v[9:10], v[9:10], -v[21:22]
	v_fma_f64 v[11:12], v[15:16], v[11:12], v[17:18]
	v_fma_f64 v[9:10], v[9:10], v[13:14], v[11:12]
	v_frexp_exp_i32_f64_e32 v13, v[1:2]
	v_add_f64 v[11:12], v[19:20], v[9:10]
	v_subbrev_co_u32_e32 v17, vcc, 0, v13, vcc
	v_cvt_f64_i32_e32 v[17:18], v17
	v_add_f64 v[13:14], v[7:8], v[11:12]
	v_add_f64 v[15:16], v[11:12], -v[19:20]
	v_mul_f64 v[19:20], v[17:18], s[84:85]
	v_add_f64 v[7:8], v[13:14], -v[7:8]
	v_add_f64 v[9:10], v[9:10], -v[15:16]
	v_fma_f64 v[15:16], v[17:18], s[84:85], -v[19:20]
	v_add_f64 v[7:8], v[11:12], -v[7:8]
	v_add_f64 v[5:6], v[5:6], v[9:10]
	v_fma_f64 v[9:10], v[17:18], s[98:99], v[15:16]
	v_add_f64 v[5:6], v[5:6], v[7:8]
	v_add_f64 v[7:8], v[19:20], v[9:10]
	v_add_f64 v[11:12], v[13:14], v[5:6]
	v_add_f64 v[19:20], v[7:8], -v[19:20]
	v_add_f64 v[15:16], v[7:8], v[11:12]
	v_add_f64 v[13:14], v[11:12], -v[13:14]
	v_add_f64 v[9:10], v[9:10], -v[19:20]
	v_mov_b32_e32 v19, 0x7ff00000
	v_add_f64 v[17:18], v[15:16], -v[7:8]
	v_add_f64 v[5:6], v[5:6], -v[13:14]
	;; [unrolled: 1-line block ×4, first 2 shown]
	v_add_f64 v[13:14], v[9:10], v[5:6]
	v_add_f64 v[7:8], v[7:8], -v[21:22]
	v_add_f64 v[7:8], v[11:12], v[7:8]
	v_add_f64 v[11:12], v[13:14], -v[9:10]
	;; [unrolled: 2-line block ×3, first 2 shown]
	v_add_f64 v[5:6], v[5:6], -v[11:12]
	v_add_f64 v[17:18], v[15:16], v[7:8]
	v_add_f64 v[9:10], v[9:10], -v[13:14]
	v_add_f64 v[11:12], v[17:18], -v[15:16]
	v_add_f64 v[5:6], v[5:6], v[9:10]
	v_add_f64 v[7:8], v[7:8], -v[11:12]
	v_add_f64 v[5:6], v[5:6], v[7:8]
	v_add_f64 v[7:8], v[17:18], v[5:6]
	v_add_f64 v[9:10], v[7:8], -v[17:18]
	v_mul_f64 v[11:12], v[3:4], v[7:8]
	v_add_f64 v[5:6], v[5:6], -v[9:10]
	v_fma_f64 v[7:8], v[3:4], v[7:8], -v[11:12]
	v_cmp_class_f64_e64 vcc, v[11:12], s34
	v_fma_f64 v[5:6], v[3:4], v[5:6], v[7:8]
	v_add_f64 v[7:8], v[11:12], v[5:6]
	v_cndmask_b32_e32 v10, v8, v12, vcc
	v_cndmask_b32_e32 v9, v7, v11, vcc
	v_mul_f64 v[13:14], v[9:10], s[4:5]
	s_mov_b32 s4, 0x6a5dcb37
	s_mov_b32 s5, 0x3e5ade15
	v_add_f64 v[7:8], v[7:8], -v[11:12]
	v_cmp_ngt_f64_e64 s[6:7], s[6:7], v[9:10]
	v_rndne_f64_e32 v[13:14], v[13:14]
	v_add_f64 v[5:6], v[5:6], -v[7:8]
	v_fma_f64 v[15:16], v[13:14], s[68:69], v[9:10]
	v_fma_f64 v[15:16], v[13:14], s[50:51], v[15:16]
	v_cvt_i32_f64_e32 v13, v[13:14]
	s_waitcnt vmcnt(2)
	v_fma_f64 v[17:18], v[15:16], s[4:5], v[56:57]
	s_mov_b32 s4, 0x623fde64
	s_mov_b32 s5, 0x3ec71dee
	v_fma_f64 v[17:18], v[15:16], v[17:18], s[4:5]
	s_mov_b32 s4, 0x7c89e6b0
	s_mov_b32 s5, 0x3efa0199
	;; [unrolled: 3-line block ×9, first 2 shown]
	v_cmp_neq_f64_e64 vcc, |v[9:10]|, s[4:5]
	s_mov_b32 s4, 0
	s_mov_b32 s5, 0x40900000
	v_cmp_nlt_f64_e64 s[4:5], s[4:5], v[9:10]
	v_fma_f64 v[17:18], v[15:16], v[17:18], 1.0
	v_cndmask_b32_e32 v6, 0, v6, vcc
	v_cndmask_b32_e32 v5, 0, v5, vcc
	s_and_b64 vcc, s[6:7], s[4:5]
	v_fma_f64 v[15:16], v[15:16], v[17:18], 1.0
	v_mul_f64 v[17:18], v[3:4], 0.5
	v_ldexp_f64 v[11:12], v[15:16], v13
	v_trunc_f64_e32 v[15:16], v[17:18]
	v_trunc_f64_e32 v[13:14], v[3:4]
	v_cndmask_b32_e64 v7, v19, v12, s[4:5]
	v_cmp_neq_f64_e64 s[10:11], v[15:16], v[17:18]
	buffer_load_dword v15, off, s[0:3], s33 offset:588 ; 4-byte Folded Reload
	v_cmp_eq_f64_e64 s[8:9], v[13:14], v[3:4]
	v_cndmask_b32_e64 v8, 0, v7, s[6:7]
	v_cndmask_b32_e32 v7, 0, v11, vcc
	v_fma_f64 v[5:6], v[7:8], v[5:6], v[7:8]
	v_cmp_class_f64_e64 vcc, v[7:8], s34
	v_cmp_gt_f64_e64 s[4:5], 0, v[3:4]
	v_cmp_eq_f64_e64 s[6:7], 0, v[1:2]
	s_and_b64 s[10:11], s[8:9], s[10:11]
	v_cndmask_b32_e64 v3, v40, v2, s[10:11]
	v_cndmask_b32_e32 v4, v5, v7, vcc
	v_cndmask_b32_e32 v5, v6, v8, vcc
	v_bfi_b32 v3, s35, v5, v3
	v_cndmask_b32_e64 v5, v43, v3, s[8:9]
	v_cndmask_b32_e64 v6, 0, v4, s[8:9]
	v_cmp_gt_f64_e32 vcc, 0, v[1:2]
	v_cmp_class_f64_e64 s[8:9], v[1:2], s34
	s_xor_b64 s[4:5], s[4:5], s[6:7]
	v_cndmask_b32_e64 v7, v19, 0, s[4:5]
	v_cndmask_b32_e64 v8, 0, v2, s[10:11]
	v_bfi_b32 v7, s35, v7, v8
	s_add_i32 s4, s49, 1
	v_cndmask_b32_e32 v4, v4, v6, vcc
	v_cndmask_b32_e32 v3, v3, v5, vcc
	s_or_b64 vcc, s[6:7], s[8:9]
	v_cndmask_b32_e32 v3, v3, v7, vcc
	v_cndmask_b32_e64 v4, v4, 0, vcc
	v_cmp_o_f64_e32 vcc, v[1:2], v[1:2]
	v_cvt_f64_i32_e32 v[0:1], v0
	v_readlane_b32 s6, v62, 1
	v_readlane_b32 s7, v62, 2
	v_cndmask_b32_e32 v2, 0, v4, vcc
	v_cndmask_b32_e32 v3, v43, v3, vcc
	v_mul_f64 v[0:1], v[2:3], v[0:1]
	v_cmp_eq_u32_e32 vcc, s49, v44
	s_or_b64 s[6:7], vcc, s[6:7]
	s_mov_b32 s49, s4
	s_waitcnt vmcnt(1)
	v_fma_f64 v[35:36], v[46:47], v[0:1], v[35:36]
	s_andn2_b64 exec, exec, s[6:7]
	s_cbranch_execz .LBB0_272
.LBB0_268:                              ;   Parent Loop BB0_225 Depth=1
                                        ; =>  This Loop Header: Depth=2
                                        ;       Child Loop BB0_270 Depth 3
	v_writelane_b32 v62, s6, 1
	v_mov_b32_e32 v46, 0
	v_writelane_b32 v62, s7, 2
	v_mov_b32_e32 v47, 0
	buffer_store_dword v35, off, s[0:3], s33 offset:628 ; 4-byte Folded Spill
	s_nop 0
	buffer_store_dword v36, off, s[0:3], s33 offset:632 ; 4-byte Folded Spill
	s_mov_b64 s[6:7], exec
	buffer_load_dword v31, off, s[0:3], s33 offset:584 ; 4-byte Folded Reload
	v_readlane_b32 s4, v61, 11
	v_readlane_b32 s5, v61, 12
	s_and_b64 s[4:5], s[6:7], s[4:5]
	s_mov_b64 exec, s[4:5]
	s_cbranch_execz .LBB0_267
; %bb.269:                              ;   in Loop: Header=BB0_268 Depth=2
	buffer_load_dword v58, off, s[0:3], s33 offset:724 ; 4-byte Folded Reload
	buffer_load_dword v59, off, s[0:3], s33 offset:728 ; 4-byte Folded Reload
	;; [unrolled: 1-line block ×6, first 2 shown]
	v_writelane_b32 v62, s6, 3
	v_mov_b32_e32 v46, 0
	s_mov_b32 s80, 0x1c7792ce
	s_mov_b32 s96, 0x9999999c
	v_readlane_b32 s82, v61, 55
	v_writelane_b32 v62, s7, 4
	v_mov_b32_e32 v47, 0
	s_mov_b32 s36, 0
	s_mov_b64 s[52:53], 0
	s_waitcnt vmcnt(9)
	v_mov_b32_e32 v44, v15
	s_waitcnt vmcnt(9)
	v_mov_b32_e32 v45, v60
	s_mov_b32 s81, 0x3fcc71c7
	s_mov_b32 s97, 0x3fd99999
	v_readlane_b32 s83, v61, 56
.LBB0_270:                              ;   Parent Loop BB0_225 Depth=1
                                        ;     Parent Loop BB0_268 Depth=2
                                        ; =>    This Inner Loop Header: Depth=3
	buffer_load_dword v31, off, s[0:3], s33 offset:584 ; 4-byte Folded Reload
	s_getpc_b64 s[16:17]
	s_add_u32 s16, s16, _Z13cuda_binomialii@rel32@lo+4
	s_addc_u32 s17, s17, _Z13cuda_binomialii@rel32@hi+12
	s_mov_b64 s[4:5], s[46:47]
	s_mov_b64 s[6:7], s[30:31]
	;; [unrolled: 1-line block ×4, first 2 shown]
	s_mov_b32 s12, s90
	s_mov_b32 s13, s91
	;; [unrolled: 1-line block ×4, first 2 shown]
	v_mov_b32_e32 v0, v15
	v_mov_b32_e32 v1, s36
	s_swappc_b64 s[30:31], s[16:17]
	v_cvt_f64_i32_e32 v[2:3], v44
	s_mov_b32 s28, 0x4222de17
	s_mov_b32 s29, 0x3fbdee67
	;; [unrolled: 1-line block ×3, first 2 shown]
	v_cndmask_b32_e64 v5, v3, v40, s[82:83]
	v_cndmask_b32_e64 v4, v2, 0, s[82:83]
	v_cmp_neq_f64_e32 vcc, 0, v[4:5]
	s_mov_b32 s4, 0x652b82fe
	s_mov_b32 s5, 0x3ff71547
	;; [unrolled: 1-line block ×7, first 2 shown]
	v_cndmask_b32_e32 v3, v40, v59, vcc
	v_cndmask_b32_e32 v2, 0, v58, vcc
	v_frexp_mant_f64_e64 v[6:7], |v[2:3]|
	v_frexp_exp_i32_f64_e32 v8, v[2:3]
	s_mov_b32 s9, 0x3ec71dee
	s_mov_b32 s10, 0x7c89e6b0
	;; [unrolled: 1-line block ×6, first 2 shown]
	v_cmp_gt_f64_e32 vcc, s[54:55], v[6:7]
	s_mov_b32 s15, 0x3f56c16c
	s_mov_b32 s16, 0x11122322
	;; [unrolled: 1-line block ×7, first 2 shown]
	v_cndmask_b32_e64 v9, 0, 1, vcc
	v_ldexp_f64 v[6:7], v[6:7], v9
	v_subbrev_co_u32_e32 v24, vcc, 0, v8, vcc
	s_mov_b32 s22, 11
	s_mov_b32 s23, 0x3fe00000
	;; [unrolled: 1-line block ×5, first 2 shown]
	v_add_f64 v[10:11], v[6:7], 1.0
	v_add_f64 v[8:9], v[6:7], -1.0
	s_mov_b32 s25, 0x40900000
	v_mov_b32_e32 v28, 0x7ff00000
	v_cvt_f64_i32_e32 v[0:1], v0
	buffer_load_dword v31, off, s[0:3], s33 offset:584 ; 4-byte Folded Reload
	v_add_u32_e32 v44, -1, v44
	v_readlane_b32 s46, v61, 0
	v_add_f64 v[12:13], v[10:11], -1.0
	s_add_i32 s36, s36, 1
	v_readlane_b32 s47, v61, 1
	s_mov_b64 s[30:31], s[66:67]
	s_mov_b64 s[94:95], s[70:71]
	;; [unrolled: 1-line block ×3, first 2 shown]
	s_mov_b32 s91, s48
	s_mov_b32 s90, s39
	v_add_f64 v[6:7], v[6:7], -v[12:13]
	v_rcp_f64_e32 v[12:13], v[10:11]
	s_mov_b32 s89, s38
	v_fma_f64 v[14:15], -v[10:11], v[12:13], 1.0
	v_fma_f64 v[12:13], v[14:15], v[12:13], v[12:13]
	v_fma_f64 v[14:15], -v[10:11], v[12:13], 1.0
	v_fma_f64 v[12:13], v[14:15], v[12:13], v[12:13]
	v_mul_f64 v[14:15], v[8:9], v[12:13]
	v_mul_f64 v[16:17], v[10:11], v[14:15]
	v_fma_f64 v[10:11], v[14:15], v[10:11], -v[16:17]
	v_fma_f64 v[6:7], v[14:15], v[6:7], v[10:11]
	v_add_f64 v[10:11], v[16:17], v[6:7]
	v_add_f64 v[18:19], v[8:9], -v[10:11]
	v_add_f64 v[16:17], v[10:11], -v[16:17]
	;; [unrolled: 1-line block ×5, first 2 shown]
	v_add_f64 v[6:7], v[6:7], v[8:9]
	v_add_f64 v[6:7], v[18:19], v[6:7]
	v_mul_f64 v[6:7], v[12:13], v[6:7]
	v_add_f64 v[16:17], v[14:15], v[6:7]
	v_add_f64 v[8:9], v[16:17], -v[14:15]
	v_ldexp_f64 v[12:13], v[16:17], 1
	v_add_f64 v[14:15], v[6:7], -v[8:9]
	v_mul_f64 v[6:7], v[16:17], v[16:17]
	v_add_f64 v[10:11], v[14:15], v[14:15]
	v_fma_f64 v[8:9], v[16:17], v[16:17], -v[6:7]
	v_fma_f64 v[8:9], v[16:17], v[10:11], v[8:9]
	v_add_f64 v[18:19], v[6:7], v[8:9]
	v_add_f64 v[6:7], v[18:19], -v[6:7]
	v_add_f64 v[20:21], v[8:9], -v[6:7]
	v_fma_f64 v[6:7], v[18:19], s[28:29], v[41:42]
	s_mov_b32 s28, 0x3abe935a
	s_mov_b32 s29, 0x3fbe25e4
	v_fma_f64 v[6:7], v[18:19], v[6:7], s[28:29]
	s_mov_b32 s28, 0x47e6c9c2
	s_mov_b32 s29, 0x3fc110ef
	;; [unrolled: 3-line block ×5, first 2 shown]
	v_fma_f64 v[6:7], v[18:19], v[6:7], s[80:81]
	v_fma_f64 v[6:7], v[18:19], v[6:7], s[28:29]
	s_mov_b32 s28, 0xd5df274d
	s_mov_b32 s29, 0x3c8543b0
	v_fma_f64 v[22:23], v[18:19], v[6:7], s[96:97]
	v_cvt_f64_i32_e32 v[6:7], v24
	v_mul_f64 v[24:25], v[16:17], v[18:19]
	v_mul_f64 v[10:11], v[6:7], s[84:85]
	v_fma_f64 v[26:27], v[18:19], v[16:17], -v[24:25]
	v_fma_f64 v[8:9], v[6:7], s[84:85], -v[10:11]
	v_fma_f64 v[6:7], v[6:7], s[98:99], v[8:9]
	v_add_f64 v[8:9], v[10:11], v[6:7]
	v_add_f64 v[10:11], v[8:9], -v[10:11]
	v_add_f64 v[6:7], v[6:7], -v[10:11]
	v_ldexp_f64 v[10:11], v[14:15], 1
	v_fma_f64 v[14:15], v[18:19], v[14:15], v[26:27]
	v_fma_f64 v[16:17], v[20:21], v[16:17], v[14:15]
	v_add_f64 v[14:15], v[24:25], v[16:17]
	v_add_f64 v[24:25], v[14:15], -v[24:25]
	v_add_f64 v[16:17], v[16:17], -v[24:25]
	v_mul_f64 v[24:25], v[18:19], v[22:23]
	v_fma_f64 v[18:19], v[18:19], v[22:23], -v[24:25]
	v_fma_f64 v[18:19], v[20:21], v[22:23], v[18:19]
	v_add_f64 v[20:21], v[24:25], v[18:19]
	v_add_f64 v[22:23], v[20:21], -v[24:25]
	v_add_f64 v[22:23], v[18:19], -v[22:23]
	v_add_f64 v[18:19], v[20:21], s[54:55]
	v_add_f64 v[22:23], v[22:23], s[28:29]
	;; [unrolled: 1-line block ×3, first 2 shown]
	s_mov_b32 s28, 0
	s_mov_b32 s29, 0x7ff00000
	v_add_f64 v[20:21], v[20:21], -v[24:25]
	v_add_f64 v[20:21], v[22:23], v[20:21]
	v_add_f64 v[22:23], v[18:19], v[20:21]
	v_add_f64 v[18:19], v[18:19], -v[22:23]
	v_add_f64 v[18:19], v[20:21], v[18:19]
	v_mul_f64 v[20:21], v[14:15], v[22:23]
	v_fma_f64 v[24:25], v[14:15], v[22:23], -v[20:21]
	v_fma_f64 v[14:15], v[14:15], v[18:19], v[24:25]
	v_fma_f64 v[14:15], v[16:17], v[22:23], v[14:15]
	v_add_f64 v[16:17], v[20:21], v[14:15]
	v_add_f64 v[18:19], v[16:17], -v[20:21]
	v_add_f64 v[14:15], v[14:15], -v[18:19]
	v_add_f64 v[18:19], v[12:13], v[16:17]
	v_add_f64 v[10:11], v[10:11], v[14:15]
	v_add_f64 v[12:13], v[18:19], -v[12:13]
	v_add_f64 v[12:13], v[16:17], -v[12:13]
	v_add_f64 v[10:11], v[10:11], v[12:13]
	;; [unrolled: 4-line block ×3, first 2 shown]
	v_add_f64 v[16:17], v[14:15], -v[8:9]
	v_add_f64 v[18:19], v[14:15], -v[16:17]
	;; [unrolled: 1-line block ×4, first 2 shown]
	v_add_f64 v[8:9], v[12:13], v[8:9]
	v_add_f64 v[12:13], v[6:7], v[10:11]
	v_add_f64 v[16:17], v[12:13], -v[6:7]
	v_add_f64 v[8:9], v[12:13], v[8:9]
	v_add_f64 v[18:19], v[12:13], -v[16:17]
	v_add_f64 v[10:11], v[10:11], -v[16:17]
	;; [unrolled: 1-line block ×3, first 2 shown]
	v_add_f64 v[6:7], v[10:11], v[6:7]
	v_add_f64 v[10:11], v[14:15], v[8:9]
	v_add_f64 v[12:13], v[10:11], -v[14:15]
	v_add_f64 v[8:9], v[8:9], -v[12:13]
	v_add_f64 v[6:7], v[6:7], v[8:9]
	v_add_f64 v[8:9], v[10:11], v[6:7]
	v_add_f64 v[10:11], v[8:9], -v[10:11]
	v_add_f64 v[6:7], v[6:7], -v[10:11]
	v_mul_f64 v[10:11], v[4:5], v[8:9]
	v_fma_f64 v[8:9], v[4:5], v[8:9], -v[10:11]
	v_cmp_class_f64_e64 vcc, v[10:11], s34
	v_fma_f64 v[6:7], v[4:5], v[6:7], v[8:9]
	v_add_f64 v[8:9], v[10:11], v[6:7]
	v_add_f64 v[12:13], v[8:9], -v[10:11]
	v_cndmask_b32_e32 v9, v9, v11, vcc
	v_cndmask_b32_e32 v8, v8, v10, vcc
	v_mul_f64 v[10:11], v[8:9], s[4:5]
	v_cmp_neq_f64_e64 vcc, |v[8:9]|, s[28:29]
	v_cmp_ngt_f64_e64 s[4:5], s[26:27], v[8:9]
	v_add_f64 v[6:7], v[6:7], -v[12:13]
	v_rndne_f64_e32 v[10:11], v[10:11]
	v_cndmask_b32_e32 v7, 0, v7, vcc
	v_cndmask_b32_e32 v6, 0, v6, vcc
	v_cmp_nlt_f64_e32 vcc, s[24:25], v[8:9]
	v_fma_f64 v[12:13], v[10:11], s[68:69], v[8:9]
	v_fma_f64 v[12:13], v[10:11], s[50:51], v[12:13]
	v_cvt_i32_f64_e32 v10, v[10:11]
	v_fma_f64 v[14:15], v[12:13], s[6:7], v[56:57]
	v_cmp_gt_f64_e64 s[6:7], 0, v[2:3]
	v_fma_f64 v[14:15], v[12:13], v[14:15], s[8:9]
	v_cmp_gt_f64_e64 s[8:9], 0, v[4:5]
	v_fma_f64 v[14:15], v[12:13], v[14:15], s[10:11]
	v_fma_f64 v[14:15], v[12:13], v[14:15], s[12:13]
	;; [unrolled: 1-line block ×7, first 2 shown]
	v_fma_f64 v[14:15], v[12:13], v[14:15], 1.0
	v_fma_f64 v[12:13], v[12:13], v[14:15], 1.0
	buffer_load_dword v15, off, s[0:3], s33 offset:588 ; 4-byte Folded Reload
	v_ldexp_f64 v[10:11], v[12:13], v10
	v_cndmask_b32_e32 v11, v28, v11, vcc
	s_and_b64 vcc, s[4:5], vcc
	v_cndmask_b32_e32 v8, 0, v10, vcc
	v_cndmask_b32_e64 v9, 0, v11, s[4:5]
	v_fma_f64 v[6:7], v[8:9], v[6:7], v[8:9]
	v_cmp_class_f64_e64 vcc, v[8:9], s34
	v_cndmask_b32_e32 v10, v6, v8, vcc
	v_cndmask_b32_e32 v11, v7, v9, vcc
	v_trunc_f64_e32 v[6:7], v[4:5]
	v_cmp_eq_f64_e32 vcc, v[6:7], v[4:5]
	v_mul_f64 v[6:7], v[4:5], 0.5
	v_trunc_f64_e32 v[8:9], v[6:7]
	v_cmp_neq_f64_e64 s[4:5], v[8:9], v[6:7]
	v_cndmask_b32_e32 v8, 0, v10, vcc
	v_cndmask_b32_e64 v8, v10, v8, s[6:7]
	s_and_b64 s[4:5], vcc, s[4:5]
	v_cndmask_b32_e64 v6, v40, v3, s[4:5]
	v_bfi_b32 v6, s35, v11, v6
	v_cndmask_b32_e32 v7, v43, v6, vcc
	v_cndmask_b32_e64 v6, v6, v7, s[6:7]
	v_cmp_class_f64_e64 s[6:7], v[2:3], s34
	v_cmp_eq_f64_e32 vcc, 0, v[2:3]
	v_cndmask_b32_e64 v5, 0, v3, s[4:5]
	s_or_b64 s[6:7], vcc, s[6:7]
	s_xor_b64 s[8:9], s[8:9], vcc
	v_cmp_o_f64_e32 vcc, v[2:3], v[2:3]
	v_cndmask_b32_e64 v4, v28, 0, s[8:9]
	v_bfi_b32 v4, s35, v4, v5
	v_cndmask_b32_e64 v4, v6, v4, s[6:7]
	v_cndmask_b32_e64 v5, v8, 0, s[6:7]
	v_cndmask_b32_e32 v2, 0, v5, vcc
	v_cndmask_b32_e32 v3, v43, v4, vcc
	v_mul_f64 v[0:1], v[2:3], v[0:1]
	buffer_load_dword v2, v45, s[0:3], 0 offen
	buffer_load_dword v3, v45, s[0:3], 0 offen offset:4
	v_cmp_eq_u32_e32 vcc, -1, v44
	v_add_u32_e32 v45, 56, v45
	s_or_b64 s[52:53], vcc, s[52:53]
	s_waitcnt vmcnt(0)
	v_fma_f64 v[46:47], v[2:3], v[0:1], v[46:47]
	s_andn2_b64 exec, exec, s[52:53]
	s_cbranch_execnz .LBB0_270
; %bb.271:                              ;   in Loop: Header=BB0_268 Depth=2
	s_or_b64 exec, exec, s[52:53]
	s_mov_b32 s52, 0x3abe935a
	s_mov_b32 s80, 0x47e6c9c2
	;; [unrolled: 1-line block ×4, first 2 shown]
	v_readlane_b32 s6, v62, 3
	s_mov_b32 s53, 0x3fbe25e4
	s_mov_b32 s81, 0x3fc110ef
	;; [unrolled: 1-line block ×4, first 2 shown]
	v_readlane_b32 s7, v62, 4
	s_branch .LBB0_267
.LBB0_272:                              ;   in Loop: Header=BB0_225 Depth=1
	s_or_b64 exec, exec, s[6:7]
	buffer_load_dword v18, off, s[0:3], s33 offset:796 ; 4-byte Folded Reload
	buffer_load_dword v19, off, s[0:3], s33 offset:804 ; 4-byte Folded Reload
	;; [unrolled: 1-line block ×14, first 2 shown]
	v_readlane_b32 s16, v61, 47
	v_readlane_b32 s18, v61, 49
	;; [unrolled: 1-line block ×8, first 2 shown]
.LBB0_273:                              ;   in Loop: Header=BB0_225 Depth=1
	s_or_b64 exec, exec, s[6:7]
	buffer_load_dword v0, off, s[0:3], s33 offset:932 ; 4-byte Folded Reload
	buffer_load_dword v1, off, s[0:3], s33 offset:936 ; 4-byte Folded Reload
	;; [unrolled: 1-line block ×4, first 2 shown]
	s_waitcnt vmcnt(2)
	v_mul_f64 v[0:1], v[0:1], v[16:17]
	v_add_f64 v[0:1], v[0:1], v[0:1]
	s_waitcnt vmcnt(0)
	v_fma_f64 v[2:3], v[2:3], v[31:32], v[0:1]
	buffer_load_dword v0, off, s[0:3], s33 offset:764 ; 4-byte Folded Reload
	buffer_load_dword v1, off, s[0:3], s33 offset:768 ; 4-byte Folded Reload
	s_waitcnt vmcnt(0)
	buffer_store_dword v1, off, s[0:3], s33 offset:196
	buffer_store_dword v0, off, s[0:3], s33 offset:192
	s_mov_b64 s[4:5], exec
	v_readlane_b32 s6, v61, 35
	v_readlane_b32 s7, v61, 36
	s_and_b64 s[6:7], s[4:5], s[6:7]
	s_mov_b64 exec, s[6:7]
	s_cbranch_execz .LBB0_275
; %bb.274:                              ;   in Loop: Header=BB0_225 Depth=1
	buffer_load_dword v0, off, s[0:3], s33 offset:764 ; 4-byte Folded Reload
	buffer_load_dword v1, off, s[0:3], s33 offset:768 ; 4-byte Folded Reload
	s_waitcnt vmcnt(0)
	v_mul_f64 v[0:1], v[0:1], v[2:3]
	buffer_store_dword v1, off, s[0:3], s33 offset:252
	buffer_store_dword v0, off, s[0:3], s33 offset:248
.LBB0_275:                              ;   in Loop: Header=BB0_225 Depth=1
	s_or_b64 exec, exec, s[4:5]
	buffer_load_dword v0, off, s[0:3], s33 offset:908 ; 4-byte Folded Reload
	buffer_load_dword v1, off, s[0:3], s33 offset:912 ; 4-byte Folded Reload
	buffer_load_dword v4, off, s[0:3], s33 offset:884 ; 4-byte Folded Reload
	buffer_load_dword v5, off, s[0:3], s33 offset:888 ; 4-byte Folded Reload
	s_waitcnt vmcnt(2)
	v_mul_f64 v[0:1], v[0:1], v[16:17]
	v_add_f64 v[0:1], v[0:1], v[0:1]
	s_waitcnt vmcnt(0)
	v_fma_f64 v[0:1], v[4:5], v[31:32], v[0:1]
	s_mov_b64 s[4:5], exec
	v_readlane_b32 s6, v61, 37
	v_readlane_b32 s7, v61, 38
	s_and_b64 s[6:7], s[4:5], s[6:7]
	s_mov_b64 exec, s[6:7]
	s_cbranch_execz .LBB0_277
; %bb.276:                              ;   in Loop: Header=BB0_225 Depth=1
	buffer_load_dword v4, off, s[0:3], s33 offset:764 ; 4-byte Folded Reload
	buffer_load_dword v5, off, s[0:3], s33 offset:768 ; 4-byte Folded Reload
	s_waitcnt vmcnt(0)
	v_mul_f64 v[4:5], v[4:5], v[0:1]
	buffer_store_dword v5, off, s[0:3], s33 offset:204
	buffer_store_dword v4, off, s[0:3], s33 offset:200
.LBB0_277:                              ;   in Loop: Header=BB0_225 Depth=1
	s_or_b64 exec, exec, s[4:5]
	s_mov_b64 s[4:5], exec
	v_readlane_b32 s6, v61, 21
	v_readlane_b32 s7, v61, 22
	s_and_b64 s[6:7], s[4:5], s[6:7]
	s_mov_b64 exec, s[6:7]
	s_cbranch_execz .LBB0_280
; %bb.278:                              ;   in Loop: Header=BB0_225 Depth=1
	buffer_load_dword v4, off, s[0:3], s33 offset:248
	buffer_load_dword v5, off, s[0:3], s33 offset:252
	s_lshr_b32 s8, s33, 6
	s_addk_i32 s8, 0xc0
	s_mov_b32 s9, 1
	s_mov_b64 s[6:7], 0
.LBB0_279:                              ;   Parent Loop BB0_225 Depth=1
                                        ; =>  This Inner Loop Header: Depth=2
	v_mov_b32_e32 v10, s8
	buffer_load_dword v6, v10, s[0:3], 0 offen
	buffer_load_dword v7, v10, s[0:3], 0 offen offset:4
	v_cvt_f64_i32_e32 v[8:9], s9
	s_add_i32 s9, s9, 1
	s_add_i32 s8, s8, 56
	v_cmp_eq_u32_e32 vcc, s9, v22
	v_mul_f64 v[8:9], v[33:34], v[8:9]
	s_or_b64 s[6:7], vcc, s[6:7]
	s_waitcnt vmcnt(0)
	v_mul_f64 v[6:7], v[6:7], v[8:9]
	v_fma_f64 v[4:5], v[2:3], v[4:5], v[6:7]
	buffer_store_dword v5, v10, s[0:3], 0 offen offset:116
	buffer_store_dword v4, v10, s[0:3], 0 offen offset:112
	s_andn2_b64 exec, exec, s[6:7]
	s_cbranch_execnz .LBB0_279
.LBB0_280:                              ;   in Loop: Header=BB0_225 Depth=1
	s_or_b64 exec, exec, s[4:5]
	s_and_saveexec_b64 s[4:5], s[24:25]
	s_cbranch_execz .LBB0_283
; %bb.281:                              ;   in Loop: Header=BB0_225 Depth=1
	buffer_load_dword v2, off, s[0:3], s33 offset:200
	buffer_load_dword v3, off, s[0:3], s33 offset:204
	s_lshr_b32 s8, s33, 6
	s_addk_i32 s8, 0xc0
	s_mov_b32 s9, 1
	s_mov_b64 s[6:7], 0
.LBB0_282:                              ;   Parent Loop BB0_225 Depth=1
                                        ; =>  This Inner Loop Header: Depth=2
	v_mov_b32_e32 v8, s8
	buffer_load_dword v4, v8, s[0:3], 0 offen
	buffer_load_dword v5, v8, s[0:3], 0 offen offset:4
	v_cvt_f64_i32_e32 v[6:7], s9
	s_add_i32 s9, s9, 1
	s_add_i32 s8, s8, 8
	v_cmp_eq_u32_e32 vcc, s9, v23
	v_mul_f64 v[6:7], v[29:30], v[6:7]
	s_or_b64 s[6:7], vcc, s[6:7]
	s_waitcnt vmcnt(0)
	v_mul_f64 v[4:5], v[4:5], v[6:7]
	v_fma_f64 v[2:3], v[0:1], v[2:3], v[4:5]
	buffer_store_dword v3, v8, s[0:3], 0 offen offset:20
	buffer_store_dword v2, v8, s[0:3], 0 offen offset:16
	s_andn2_b64 exec, exec, s[6:7]
	s_cbranch_execnz .LBB0_282
.LBB0_283:                              ;   in Loop: Header=BB0_225 Depth=1
	s_or_b64 exec, exec, s[4:5]
	s_mov_b64 s[4:5], exec
	v_readlane_b32 s6, v61, 39
	v_readlane_b32 s7, v61, 40
	s_and_b64 s[6:7], s[4:5], s[6:7]
	s_mov_b64 exec, s[6:7]
	s_cbranch_execz .LBB0_289
; %bb.284:                              ;   in Loop: Header=BB0_225 Depth=1
	v_mov_b32_e32 v2, 0
	s_mov_b32 s13, 1
	s_mov_b64 s[6:7], 0
	v_mov_b32_e32 v3, 0x3ff00000
	v_readlane_b32 s12, v61, 4
	s_branch .LBB0_286
.LBB0_285:                              ;   in Loop: Header=BB0_286 Depth=2
	s_or_b64 exec, exec, s[8:9]
	v_add_f64 v[2:3], v[2:3], 1.0
	s_add_i32 s8, s13, 1
	s_add_i32 s12, s12, 56
	v_cmp_eq_u32_e32 vcc, s13, v22
	s_or_b64 s[6:7], vcc, s[6:7]
	s_mov_b32 s13, s8
	s_andn2_b64 exec, exec, s[6:7]
	s_cbranch_execz .LBB0_289
.LBB0_286:                              ;   Parent Loop BB0_225 Depth=1
                                        ; =>  This Loop Header: Depth=2
                                        ;       Child Loop BB0_288 Depth 3
	s_mul_i32 s8, s13, 56
	s_lshr_b32 s9, s33, 6
	s_add_i32 s8, s9, s8
	s_addk_i32 s8, 0xc0
	v_mov_b32_e32 v10, s8
	buffer_load_dword v6, v10, s[0:3], 0 offen
	buffer_load_dword v7, v10, s[0:3], 0 offen offset:4
	s_sub_i32 s8, s8, 56
	v_mov_b32_e32 v4, s8
	buffer_load_dword v8, v4, s[0:3], 0 offen
	buffer_load_dword v9, v4, s[0:3], 0 offen offset:4
	v_mul_f64 v[4:5], v[16:17], v[2:3]
	s_waitcnt vmcnt(2)
	v_mul_f64 v[6:7], v[0:1], v[6:7]
	s_waitcnt vmcnt(0)
	v_fma_f64 v[6:7], v[8:9], v[4:5], v[6:7]
	buffer_store_dword v7, v10, s[0:3], 0 offen offset:12
	buffer_store_dword v6, v10, s[0:3], 0 offen offset:8
	s_and_saveexec_b64 s[8:9], s[24:25]
	s_cbranch_execz .LBB0_285
; %bb.287:                              ;   in Loop: Header=BB0_286 Depth=2
	s_mov_b32 s14, 1
	s_mov_b64 s[10:11], 0
	s_mov_b32 s15, s12
.LBB0_288:                              ;   Parent Loop BB0_225 Depth=1
                                        ;     Parent Loop BB0_286 Depth=2
                                        ; =>    This Inner Loop Header: Depth=3
	v_mov_b32_e32 v14, s15
	buffer_load_dword v8, v14, s[0:3], 0 offen offset:48
	buffer_load_dword v9, v14, s[0:3], 0 offen offset:52
	buffer_load_dword v10, v14, s[0:3], 0 offen
	buffer_load_dword v11, v14, s[0:3], 0 offen offset:4
	v_cvt_f64_i32_e32 v[12:13], s14
	s_add_i32 s14, s14, 1
	s_add_i32 s15, s15, 8
	v_cmp_eq_u32_e32 vcc, s14, v23
	v_mul_f64 v[12:13], v[29:30], v[12:13]
	s_or_b64 s[10:11], vcc, s[10:11]
	s_waitcnt vmcnt(2)
	v_mul_f64 v[8:9], v[8:9], v[12:13]
	s_waitcnt vmcnt(0)
	v_fma_f64 v[8:9], v[4:5], v[10:11], v[8:9]
	v_fma_f64 v[6:7], v[0:1], v[6:7], v[8:9]
	buffer_store_dword v7, v14, s[0:3], 0 offen offset:68
	buffer_store_dword v6, v14, s[0:3], 0 offen offset:64
	s_andn2_b64 exec, exec, s[10:11]
	s_cbranch_execnz .LBB0_288
	s_branch .LBB0_285
.LBB0_289:                              ;   in Loop: Header=BB0_225 Depth=1
	s_or_b64 exec, exec, s[4:5]
	v_mov_b32_e32 v2, 0
	v_mov_b32_e32 v3, 0
	s_mov_b64 s[6:7], exec
	buffer_load_dword v0, off, s[0:3], s33 offset:592 ; 4-byte Folded Reload
	buffer_load_dword v60, off, s[0:3], s33 offset:832 ; 4-byte Folded Reload
	v_readlane_b32 s4, v61, 13
	v_readlane_b32 s5, v61, 14
	s_and_b64 s[4:5], s[6:7], s[4:5]
	s_mov_b64 exec, s[4:5]
	s_cbranch_execz .LBB0_224
; %bb.290:                              ;   in Loop: Header=BB0_225 Depth=1
	buffer_store_dword v35, off, s[0:3], s33 offset:628 ; 4-byte Folded Spill
	s_nop 0
	buffer_store_dword v36, off, s[0:3], s33 offset:632 ; 4-byte Folded Spill
	buffer_load_dword v45, off, s[0:3], s33 offset:964 ; 4-byte Folded Reload
	v_writelane_b32 v61, s6, 63
	v_mov_b32_e32 v2, 0
	v_writelane_b32 v62, s7, 0
	v_mov_b32_e32 v3, 0
	s_mov_b32 s49, 0
	s_mov_b64 s[6:7], 0
	s_branch .LBB0_292
.LBB0_291:                              ;   in Loop: Header=BB0_292 Depth=2
	s_or_b64 exec, exec, s[6:7]
	s_getpc_b64 s[16:17]
	s_add_u32 s16, s16, _Z13cuda_binomialii@rel32@lo+4
	s_addc_u32 s17, s17, _Z13cuda_binomialii@rel32@hi+12
	s_mov_b64 s[4:5], s[46:47]
	s_mov_b64 s[6:7], s[30:31]
	;; [unrolled: 1-line block ×4, first 2 shown]
	s_mov_b32 s12, s90
	s_mov_b32 s13, s91
	;; [unrolled: 1-line block ×4, first 2 shown]
	s_waitcnt vmcnt(3)
	v_mov_b32_e32 v0, v60
	v_mov_b32_e32 v1, s49
	s_swappc_b64 s[30:31], s[16:17]
	v_subrev_u32_e32 v1, s49, v60
	v_cvt_f64_i32_e32 v[1:2], v1
	v_readlane_b32 s4, v61, 45
	v_readlane_b32 s5, v61, 46
	s_mov_b32 s86, s54
	v_cndmask_b32_e64 v4, v2, v40, s[4:5]
	v_cndmask_b32_e64 v3, v1, 0, s[4:5]
	buffer_load_dword v1, off, s[0:3], s33 offset:676 ; 4-byte Folded Reload
	buffer_load_dword v2, off, s[0:3], s33 offset:680 ; 4-byte Folded Reload
	v_cmp_neq_f64_e32 vcc, 0, v[3:4]
	buffer_load_dword v41, off, s[0:3], s33 offset:596 ; 4-byte Folded Reload
	buffer_load_dword v42, off, s[0:3], s33 offset:600 ; 4-byte Folded Reload
	s_mov_b32 s4, 0x4222de17
	s_mov_b32 s5, 0x3fbdee67
	buffer_load_dword v56, off, s[0:3], s33 offset:612 ; 4-byte Folded Reload
	buffer_load_dword v57, off, s[0:3], s33 offset:616 ; 4-byte Folded Reload
	s_mov_b32 s68, s84
	s_mov_b32 s50, s98
	;; [unrolled: 1-line block ×4, first 2 shown]
	v_readlane_b32 s46, v61, 0
	v_readlane_b32 s47, v61, 1
	s_mov_b64 s[30:31], s[66:67]
	s_mov_b64 s[94:95], s[70:71]
	;; [unrolled: 1-line block ×3, first 2 shown]
	s_mov_b32 s91, s48
	s_mov_b32 s90, s39
	;; [unrolled: 1-line block ×3, first 2 shown]
	v_add_u32_e32 v45, 8, v45
	s_waitcnt vmcnt(5)
	v_cndmask_b32_e32 v1, 0, v1, vcc
	s_waitcnt vmcnt(4)
	v_cndmask_b32_e32 v2, v40, v2, vcc
	v_frexp_mant_f64_e64 v[5:6], |v[1:2]|
	v_cmp_gt_f64_e32 vcc, s[54:55], v[5:6]
	v_cndmask_b32_e64 v7, 0, 1, vcc
	v_ldexp_f64 v[5:6], v[5:6], v7
	v_add_f64 v[7:8], v[5:6], 1.0
	v_add_f64 v[13:14], v[5:6], -1.0
	v_rcp_f64_e32 v[9:10], v[7:8]
	v_add_f64 v[15:16], v[7:8], -1.0
	v_add_f64 v[5:6], v[5:6], -v[15:16]
	v_fma_f64 v[11:12], -v[7:8], v[9:10], 1.0
	v_fma_f64 v[9:10], v[11:12], v[9:10], v[9:10]
	v_fma_f64 v[11:12], -v[7:8], v[9:10], 1.0
	v_fma_f64 v[9:10], v[11:12], v[9:10], v[9:10]
	v_mul_f64 v[11:12], v[13:14], v[9:10]
	v_mul_f64 v[17:18], v[7:8], v[11:12]
	v_fma_f64 v[7:8], v[11:12], v[7:8], -v[17:18]
	v_fma_f64 v[5:6], v[11:12], v[5:6], v[7:8]
	v_add_f64 v[7:8], v[17:18], v[5:6]
	v_add_f64 v[15:16], v[13:14], -v[7:8]
	v_add_f64 v[17:18], v[7:8], -v[17:18]
	;; [unrolled: 1-line block ×5, first 2 shown]
	v_add_f64 v[5:6], v[5:6], v[7:8]
	v_add_f64 v[5:6], v[15:16], v[5:6]
	v_mul_f64 v[5:6], v[9:10], v[5:6]
	v_add_f64 v[7:8], v[11:12], v[5:6]
	v_add_f64 v[9:10], v[7:8], -v[11:12]
	v_mul_f64 v[11:12], v[7:8], v[7:8]
	v_add_f64 v[5:6], v[5:6], -v[9:10]
	v_fma_f64 v[9:10], v[7:8], v[7:8], -v[11:12]
	v_add_f64 v[13:14], v[5:6], v[5:6]
	v_fma_f64 v[9:10], v[7:8], v[13:14], v[9:10]
	v_add_f64 v[13:14], v[11:12], v[9:10]
	s_waitcnt vmcnt(2)
	v_fma_f64 v[15:16], v[13:14], s[4:5], v[41:42]
	s_mov_b32 s4, 0x1c7792ce
	s_mov_b32 s5, 0x3fcc71c7
	v_add_f64 v[11:12], v[13:14], -v[11:12]
	v_mul_f64 v[21:22], v[7:8], v[13:14]
	v_fma_f64 v[15:16], v[13:14], v[15:16], s[52:53]
	v_add_f64 v[9:10], v[9:10], -v[11:12]
	v_fma_f64 v[15:16], v[13:14], v[15:16], s[80:81]
	v_fma_f64 v[15:16], v[13:14], v[15:16], s[82:83]
	;; [unrolled: 1-line block ×4, first 2 shown]
	s_mov_b32 s4, 0x924920da
	s_mov_b32 s5, 0x3fd24924
	v_fma_f64 v[15:16], v[13:14], v[15:16], s[4:5]
	s_mov_b32 s4, 0x9999999c
	s_mov_b32 s5, 0x3fd99999
	v_fma_f64 v[15:16], v[13:14], v[15:16], s[4:5]
	s_mov_b32 s4, 0xd5df274d
	s_mov_b32 s5, 0x3c8543b0
	v_mul_f64 v[17:18], v[13:14], v[15:16]
	v_fma_f64 v[11:12], v[13:14], v[15:16], -v[17:18]
	v_fma_f64 v[11:12], v[9:10], v[15:16], v[11:12]
	v_add_f64 v[15:16], v[17:18], v[11:12]
	v_add_f64 v[19:20], v[15:16], s[54:55]
	v_add_f64 v[17:18], v[15:16], -v[17:18]
	v_add_f64 v[23:24], v[19:20], s[86:87]
	v_add_f64 v[11:12], v[11:12], -v[17:18]
	v_fma_f64 v[17:18], v[13:14], v[7:8], -v[21:22]
	v_add_f64 v[15:16], v[15:16], -v[23:24]
	v_add_f64 v[11:12], v[11:12], s[4:5]
	v_fma_f64 v[13:14], v[13:14], v[5:6], v[17:18]
	v_ldexp_f64 v[5:6], v[5:6], 1
	s_mov_b32 s4, 0x652b82fe
	s_mov_b32 s5, 0x3ff71547
	v_add_f64 v[11:12], v[11:12], v[15:16]
	v_fma_f64 v[9:10], v[9:10], v[7:8], v[13:14]
	v_ldexp_f64 v[7:8], v[7:8], 1
	v_add_f64 v[13:14], v[19:20], v[11:12]
	v_add_f64 v[15:16], v[21:22], v[9:10]
	v_add_f64 v[17:18], v[19:20], -v[13:14]
	v_mul_f64 v[19:20], v[15:16], v[13:14]
	v_add_f64 v[21:22], v[15:16], -v[21:22]
	v_add_f64 v[11:12], v[11:12], v[17:18]
	v_fma_f64 v[17:18], v[15:16], v[13:14], -v[19:20]
	v_add_f64 v[9:10], v[9:10], -v[21:22]
	v_fma_f64 v[11:12], v[15:16], v[11:12], v[17:18]
	v_fma_f64 v[9:10], v[9:10], v[13:14], v[11:12]
	v_frexp_exp_i32_f64_e32 v13, v[1:2]
	v_add_f64 v[11:12], v[19:20], v[9:10]
	v_subbrev_co_u32_e32 v17, vcc, 0, v13, vcc
	v_cvt_f64_i32_e32 v[17:18], v17
	v_add_f64 v[13:14], v[7:8], v[11:12]
	v_add_f64 v[15:16], v[11:12], -v[19:20]
	v_mul_f64 v[19:20], v[17:18], s[84:85]
	v_add_f64 v[7:8], v[13:14], -v[7:8]
	v_add_f64 v[9:10], v[9:10], -v[15:16]
	v_fma_f64 v[15:16], v[17:18], s[84:85], -v[19:20]
	v_add_f64 v[7:8], v[11:12], -v[7:8]
	v_add_f64 v[5:6], v[5:6], v[9:10]
	v_fma_f64 v[9:10], v[17:18], s[98:99], v[15:16]
	v_add_f64 v[5:6], v[5:6], v[7:8]
	v_add_f64 v[7:8], v[19:20], v[9:10]
	;; [unrolled: 1-line block ×3, first 2 shown]
	v_add_f64 v[19:20], v[7:8], -v[19:20]
	v_add_f64 v[15:16], v[7:8], v[11:12]
	v_add_f64 v[13:14], v[11:12], -v[13:14]
	v_add_f64 v[9:10], v[9:10], -v[19:20]
	v_mov_b32_e32 v19, 0x7ff00000
	v_add_f64 v[17:18], v[15:16], -v[7:8]
	v_add_f64 v[5:6], v[5:6], -v[13:14]
	;; [unrolled: 1-line block ×4, first 2 shown]
	v_add_f64 v[13:14], v[9:10], v[5:6]
	v_add_f64 v[7:8], v[7:8], -v[21:22]
	v_add_f64 v[7:8], v[11:12], v[7:8]
	v_add_f64 v[11:12], v[13:14], -v[9:10]
	;; [unrolled: 2-line block ×3, first 2 shown]
	v_add_f64 v[5:6], v[5:6], -v[11:12]
	v_add_f64 v[17:18], v[15:16], v[7:8]
	v_add_f64 v[9:10], v[9:10], -v[13:14]
	v_add_f64 v[11:12], v[17:18], -v[15:16]
	v_add_f64 v[5:6], v[5:6], v[9:10]
	v_add_f64 v[7:8], v[7:8], -v[11:12]
	v_add_f64 v[5:6], v[5:6], v[7:8]
	v_add_f64 v[7:8], v[17:18], v[5:6]
	v_add_f64 v[9:10], v[7:8], -v[17:18]
	v_mul_f64 v[11:12], v[3:4], v[7:8]
	v_add_f64 v[5:6], v[5:6], -v[9:10]
	v_fma_f64 v[7:8], v[3:4], v[7:8], -v[11:12]
	v_cmp_class_f64_e64 vcc, v[11:12], s34
	v_fma_f64 v[5:6], v[3:4], v[5:6], v[7:8]
	v_add_f64 v[7:8], v[11:12], v[5:6]
	v_cndmask_b32_e32 v10, v8, v12, vcc
	v_cndmask_b32_e32 v9, v7, v11, vcc
	v_mul_f64 v[13:14], v[9:10], s[4:5]
	s_mov_b32 s4, 0x6a5dcb37
	s_mov_b32 s5, 0x3e5ade15
	v_add_f64 v[7:8], v[7:8], -v[11:12]
	v_cmp_ngt_f64_e64 s[6:7], s[6:7], v[9:10]
	v_rndne_f64_e32 v[13:14], v[13:14]
	v_add_f64 v[5:6], v[5:6], -v[7:8]
	v_fma_f64 v[15:16], v[13:14], s[68:69], v[9:10]
	v_fma_f64 v[15:16], v[13:14], s[50:51], v[15:16]
	v_cvt_i32_f64_e32 v13, v[13:14]
	s_waitcnt vmcnt(0)
	v_fma_f64 v[17:18], v[15:16], s[4:5], v[56:57]
	s_mov_b32 s4, 0x623fde64
	s_mov_b32 s5, 0x3ec71dee
	v_fma_f64 v[17:18], v[15:16], v[17:18], s[4:5]
	s_mov_b32 s4, 0x7c89e6b0
	s_mov_b32 s5, 0x3efa0199
	;; [unrolled: 3-line block ×9, first 2 shown]
	v_cmp_neq_f64_e64 vcc, |v[9:10]|, s[4:5]
	s_mov_b32 s4, 0
	s_mov_b32 s5, 0x40900000
	v_cmp_nlt_f64_e64 s[4:5], s[4:5], v[9:10]
	v_fma_f64 v[17:18], v[15:16], v[17:18], 1.0
	v_cndmask_b32_e32 v6, 0, v6, vcc
	v_cndmask_b32_e32 v5, 0, v5, vcc
	s_and_b64 vcc, s[6:7], s[4:5]
	v_fma_f64 v[15:16], v[15:16], v[17:18], 1.0
	v_mul_f64 v[17:18], v[3:4], 0.5
	v_ldexp_f64 v[11:12], v[15:16], v13
	v_trunc_f64_e32 v[13:14], v[3:4]
	v_trunc_f64_e32 v[15:16], v[17:18]
	v_cndmask_b32_e64 v7, v19, v12, s[4:5]
	v_cmp_eq_f64_e64 s[8:9], v[13:14], v[3:4]
	v_cmp_neq_f64_e64 s[10:11], v[15:16], v[17:18]
	v_cndmask_b32_e64 v8, 0, v7, s[6:7]
	v_cndmask_b32_e32 v7, 0, v11, vcc
	v_fma_f64 v[5:6], v[7:8], v[5:6], v[7:8]
	v_cmp_class_f64_e64 vcc, v[7:8], s34
	v_cmp_gt_f64_e64 s[4:5], 0, v[3:4]
	v_cmp_eq_f64_e64 s[6:7], 0, v[1:2]
	s_and_b64 s[10:11], s[8:9], s[10:11]
	v_cndmask_b32_e64 v3, v40, v2, s[10:11]
	v_cndmask_b32_e32 v4, v5, v7, vcc
	v_cndmask_b32_e32 v5, v6, v8, vcc
	v_bfi_b32 v3, s35, v5, v3
	v_cndmask_b32_e64 v5, v43, v3, s[8:9]
	v_cndmask_b32_e64 v6, 0, v4, s[8:9]
	v_cmp_gt_f64_e32 vcc, 0, v[1:2]
	v_cmp_class_f64_e64 s[8:9], v[1:2], s34
	s_xor_b64 s[4:5], s[4:5], s[6:7]
	v_cndmask_b32_e64 v7, v19, 0, s[4:5]
	v_cndmask_b32_e64 v8, 0, v2, s[10:11]
	v_bfi_b32 v7, s35, v7, v8
	s_add_i32 s4, s49, 1
	v_cndmask_b32_e32 v4, v4, v6, vcc
	v_cndmask_b32_e32 v3, v3, v5, vcc
	s_or_b64 vcc, s[6:7], s[8:9]
	v_cndmask_b32_e32 v3, v3, v7, vcc
	v_cndmask_b32_e64 v4, v4, 0, vcc
	v_cmp_o_f64_e32 vcc, v[1:2], v[1:2]
	v_cvt_f64_i32_e32 v[0:1], v0
	v_readlane_b32 s6, v62, 1
	v_readlane_b32 s7, v62, 2
	v_cndmask_b32_e32 v2, 0, v4, vcc
	v_cndmask_b32_e32 v3, v43, v3, vcc
	v_mul_f64 v[0:1], v[2:3], v[0:1]
	buffer_load_dword v2, off, s[0:3], s33 offset:636 ; 4-byte Folded Reload
	buffer_load_dword v3, off, s[0:3], s33 offset:640 ; 4-byte Folded Reload
	v_cmp_eq_u32_e32 vcc, s49, v60
	s_or_b64 s[6:7], vcc, s[6:7]
	s_mov_b32 s49, s4
	s_waitcnt vmcnt(0)
	v_fma_f64 v[2:3], v[46:47], v[0:1], v[2:3]
	buffer_load_dword v0, off, s[0:3], s33 offset:592 ; 4-byte Folded Reload
	s_andn2_b64 exec, exec, s[6:7]
	s_cbranch_execz .LBB0_223
.LBB0_292:                              ;   Parent Loop BB0_225 Depth=1
                                        ; =>  This Loop Header: Depth=2
                                        ;       Child Loop BB0_294 Depth 3
	v_writelane_b32 v62, s6, 1
	v_mov_b32_e32 v46, 0
	v_writelane_b32 v62, s7, 2
	v_mov_b32_e32 v47, 0
	buffer_store_dword v2, off, s[0:3], s33 offset:636 ; 4-byte Folded Spill
	s_nop 0
	buffer_store_dword v3, off, s[0:3], s33 offset:640 ; 4-byte Folded Spill
	s_mov_b64 s[6:7], exec
	buffer_load_dword v31, off, s[0:3], s33 offset:584 ; 4-byte Folded Reload
	v_readlane_b32 s4, v61, 15
	v_readlane_b32 s5, v61, 16
	s_and_b64 s[4:5], s[6:7], s[4:5]
	s_mov_b64 exec, s[4:5]
	s_cbranch_execz .LBB0_291
; %bb.293:                              ;   in Loop: Header=BB0_292 Depth=2
	s_waitcnt vmcnt(3)
	buffer_store_dword v45, off, s[0:3], s33 offset:692 ; 4-byte Folded Spill
	buffer_load_dword v58, off, s[0:3], s33 offset:732 ; 4-byte Folded Reload
	buffer_load_dword v59, off, s[0:3], s33 offset:736 ; 4-byte Folded Reload
	;; [unrolled: 1-line block ×6, first 2 shown]
	v_writelane_b32 v62, s6, 3
	v_mov_b32_e32 v46, 0
	s_mov_b32 s80, 0x1c7792ce
	s_mov_b32 s96, 0x9999999c
	v_readlane_b32 s82, v61, 57
	v_writelane_b32 v62, s7, 4
	v_mov_b32_e32 v47, 0
	s_mov_b32 s36, 0
	s_mov_b64 s[52:53], 0
	v_mov_b32_e32 v44, v0
	s_mov_b32 s81, 0x3fcc71c7
	s_mov_b32 s97, 0x3fd99999
	v_readlane_b32 s83, v61, 58
.LBB0_294:                              ;   Parent Loop BB0_225 Depth=1
                                        ;     Parent Loop BB0_292 Depth=2
                                        ; =>    This Inner Loop Header: Depth=3
	buffer_load_dword v31, off, s[0:3], s33 offset:584 ; 4-byte Folded Reload
	s_getpc_b64 s[16:17]
	s_add_u32 s16, s16, _Z13cuda_binomialii@rel32@lo+4
	s_addc_u32 s17, s17, _Z13cuda_binomialii@rel32@hi+12
	s_mov_b64 s[4:5], s[46:47]
	s_mov_b64 s[6:7], s[30:31]
	;; [unrolled: 1-line block ×4, first 2 shown]
	s_mov_b32 s12, s90
	s_mov_b32 s13, s91
	;; [unrolled: 1-line block ×4, first 2 shown]
	v_mov_b32_e32 v1, s36
	s_swappc_b64 s[30:31], s[16:17]
	v_cvt_f64_i32_e32 v[2:3], v44
	s_mov_b32 s28, 0x4222de17
	s_mov_b32 s29, 0x3fbdee67
	;; [unrolled: 1-line block ×3, first 2 shown]
	v_cndmask_b32_e64 v5, v3, v40, s[82:83]
	v_cndmask_b32_e64 v4, v2, 0, s[82:83]
	v_cmp_neq_f64_e32 vcc, 0, v[4:5]
	s_mov_b32 s4, 0x652b82fe
	s_mov_b32 s5, 0x3ff71547
	;; [unrolled: 1-line block ×7, first 2 shown]
	v_cndmask_b32_e32 v3, v40, v59, vcc
	v_cndmask_b32_e32 v2, 0, v58, vcc
	v_frexp_mant_f64_e64 v[6:7], |v[2:3]|
	v_frexp_exp_i32_f64_e32 v8, v[2:3]
	s_mov_b32 s9, 0x3ec71dee
	s_mov_b32 s10, 0x7c89e6b0
	s_mov_b32 s11, 0x3efa0199
	s_mov_b32 s12, 0x14761f6e
	s_mov_b32 s13, 0x3f2a01a0
	s_mov_b32 s14, 0x1852b7b0
	v_cmp_gt_f64_e32 vcc, s[54:55], v[6:7]
	s_mov_b32 s15, 0x3f56c16c
	s_mov_b32 s16, 0x11122322
	;; [unrolled: 1-line block ×7, first 2 shown]
	v_cndmask_b32_e64 v9, 0, 1, vcc
	v_ldexp_f64 v[6:7], v[6:7], v9
	v_subbrev_co_u32_e32 v24, vcc, 0, v8, vcc
	s_mov_b32 s22, 11
	s_mov_b32 s23, 0x3fe00000
	;; [unrolled: 1-line block ×5, first 2 shown]
	v_add_f64 v[10:11], v[6:7], 1.0
	v_add_f64 v[8:9], v[6:7], -1.0
	s_mov_b32 s25, 0x40900000
	v_mov_b32_e32 v1, 0x7ff00000
	v_cvt_f64_i32_e32 v[28:29], v0
	buffer_load_dword v31, off, s[0:3], s33 offset:584 ; 4-byte Folded Reload
	buffer_load_dword v0, off, s[0:3], s33 offset:592 ; 4-byte Folded Reload
	v_add_u32_e32 v44, -1, v44
	v_add_f64 v[12:13], v[10:11], -1.0
	v_readlane_b32 s46, v61, 0
	s_add_i32 s36, s36, 1
	v_readlane_b32 s47, v61, 1
	s_mov_b64 s[30:31], s[66:67]
	s_mov_b64 s[94:95], s[70:71]
	;; [unrolled: 1-line block ×3, first 2 shown]
	s_mov_b32 s91, s48
	v_add_f64 v[6:7], v[6:7], -v[12:13]
	v_rcp_f64_e32 v[12:13], v[10:11]
	s_mov_b32 s90, s39
	s_mov_b32 s89, s38
	v_fma_f64 v[14:15], -v[10:11], v[12:13], 1.0
	v_fma_f64 v[12:13], v[14:15], v[12:13], v[12:13]
	v_fma_f64 v[14:15], -v[10:11], v[12:13], 1.0
	v_fma_f64 v[12:13], v[14:15], v[12:13], v[12:13]
	v_mul_f64 v[14:15], v[8:9], v[12:13]
	v_mul_f64 v[16:17], v[10:11], v[14:15]
	v_fma_f64 v[10:11], v[14:15], v[10:11], -v[16:17]
	v_fma_f64 v[6:7], v[14:15], v[6:7], v[10:11]
	v_add_f64 v[10:11], v[16:17], v[6:7]
	v_add_f64 v[18:19], v[8:9], -v[10:11]
	v_add_f64 v[16:17], v[10:11], -v[16:17]
	;; [unrolled: 1-line block ×5, first 2 shown]
	v_add_f64 v[6:7], v[6:7], v[8:9]
	v_add_f64 v[6:7], v[18:19], v[6:7]
	v_mul_f64 v[6:7], v[12:13], v[6:7]
	v_add_f64 v[16:17], v[14:15], v[6:7]
	v_add_f64 v[8:9], v[16:17], -v[14:15]
	v_ldexp_f64 v[12:13], v[16:17], 1
	v_add_f64 v[14:15], v[6:7], -v[8:9]
	v_mul_f64 v[6:7], v[16:17], v[16:17]
	v_add_f64 v[10:11], v[14:15], v[14:15]
	v_fma_f64 v[8:9], v[16:17], v[16:17], -v[6:7]
	v_fma_f64 v[8:9], v[16:17], v[10:11], v[8:9]
	v_add_f64 v[18:19], v[6:7], v[8:9]
	v_add_f64 v[6:7], v[18:19], -v[6:7]
	v_add_f64 v[20:21], v[8:9], -v[6:7]
	v_fma_f64 v[6:7], v[18:19], s[28:29], v[41:42]
	s_mov_b32 s28, 0x3abe935a
	s_mov_b32 s29, 0x3fbe25e4
	v_fma_f64 v[6:7], v[18:19], v[6:7], s[28:29]
	s_mov_b32 s28, 0x47e6c9c2
	s_mov_b32 s29, 0x3fc110ef
	;; [unrolled: 3-line block ×5, first 2 shown]
	v_fma_f64 v[6:7], v[18:19], v[6:7], s[80:81]
	v_fma_f64 v[6:7], v[18:19], v[6:7], s[28:29]
	s_mov_b32 s28, 0xd5df274d
	s_mov_b32 s29, 0x3c8543b0
	v_fma_f64 v[22:23], v[18:19], v[6:7], s[96:97]
	v_cvt_f64_i32_e32 v[6:7], v24
	v_mul_f64 v[24:25], v[16:17], v[18:19]
	v_mul_f64 v[10:11], v[6:7], s[84:85]
	v_fma_f64 v[26:27], v[18:19], v[16:17], -v[24:25]
	v_fma_f64 v[8:9], v[6:7], s[84:85], -v[10:11]
	v_fma_f64 v[6:7], v[6:7], s[98:99], v[8:9]
	v_add_f64 v[8:9], v[10:11], v[6:7]
	v_add_f64 v[10:11], v[8:9], -v[10:11]
	v_add_f64 v[6:7], v[6:7], -v[10:11]
	v_ldexp_f64 v[10:11], v[14:15], 1
	v_fma_f64 v[14:15], v[18:19], v[14:15], v[26:27]
	v_fma_f64 v[16:17], v[20:21], v[16:17], v[14:15]
	v_add_f64 v[14:15], v[24:25], v[16:17]
	v_add_f64 v[24:25], v[14:15], -v[24:25]
	v_add_f64 v[16:17], v[16:17], -v[24:25]
	v_mul_f64 v[24:25], v[18:19], v[22:23]
	v_fma_f64 v[18:19], v[18:19], v[22:23], -v[24:25]
	v_fma_f64 v[18:19], v[20:21], v[22:23], v[18:19]
	v_add_f64 v[20:21], v[24:25], v[18:19]
	v_add_f64 v[22:23], v[20:21], -v[24:25]
	v_add_f64 v[22:23], v[18:19], -v[22:23]
	v_add_f64 v[18:19], v[20:21], s[54:55]
	v_add_f64 v[22:23], v[22:23], s[28:29]
	;; [unrolled: 1-line block ×3, first 2 shown]
	s_mov_b32 s28, 0
	s_mov_b32 s29, 0x7ff00000
	v_add_f64 v[20:21], v[20:21], -v[24:25]
	v_add_f64 v[20:21], v[22:23], v[20:21]
	v_add_f64 v[22:23], v[18:19], v[20:21]
	v_add_f64 v[18:19], v[18:19], -v[22:23]
	v_add_f64 v[18:19], v[20:21], v[18:19]
	v_mul_f64 v[20:21], v[14:15], v[22:23]
	v_fma_f64 v[24:25], v[14:15], v[22:23], -v[20:21]
	v_fma_f64 v[14:15], v[14:15], v[18:19], v[24:25]
	v_fma_f64 v[14:15], v[16:17], v[22:23], v[14:15]
	v_add_f64 v[16:17], v[20:21], v[14:15]
	v_add_f64 v[18:19], v[16:17], -v[20:21]
	v_add_f64 v[14:15], v[14:15], -v[18:19]
	v_add_f64 v[18:19], v[12:13], v[16:17]
	v_add_f64 v[10:11], v[10:11], v[14:15]
	v_add_f64 v[12:13], v[18:19], -v[12:13]
	v_add_f64 v[12:13], v[16:17], -v[12:13]
	v_add_f64 v[10:11], v[10:11], v[12:13]
	;; [unrolled: 4-line block ×3, first 2 shown]
	v_add_f64 v[16:17], v[14:15], -v[8:9]
	v_add_f64 v[18:19], v[14:15], -v[16:17]
	;; [unrolled: 1-line block ×4, first 2 shown]
	v_add_f64 v[8:9], v[12:13], v[8:9]
	v_add_f64 v[12:13], v[6:7], v[10:11]
	v_add_f64 v[16:17], v[12:13], -v[6:7]
	v_add_f64 v[8:9], v[12:13], v[8:9]
	v_add_f64 v[18:19], v[12:13], -v[16:17]
	v_add_f64 v[10:11], v[10:11], -v[16:17]
	;; [unrolled: 1-line block ×3, first 2 shown]
	v_add_f64 v[6:7], v[10:11], v[6:7]
	v_add_f64 v[10:11], v[14:15], v[8:9]
	v_add_f64 v[12:13], v[10:11], -v[14:15]
	v_add_f64 v[8:9], v[8:9], -v[12:13]
	v_add_f64 v[6:7], v[6:7], v[8:9]
	v_add_f64 v[8:9], v[10:11], v[6:7]
	v_add_f64 v[10:11], v[8:9], -v[10:11]
	v_add_f64 v[6:7], v[6:7], -v[10:11]
	v_mul_f64 v[10:11], v[4:5], v[8:9]
	v_fma_f64 v[8:9], v[4:5], v[8:9], -v[10:11]
	v_cmp_class_f64_e64 vcc, v[10:11], s34
	v_fma_f64 v[6:7], v[4:5], v[6:7], v[8:9]
	v_add_f64 v[8:9], v[10:11], v[6:7]
	v_add_f64 v[12:13], v[8:9], -v[10:11]
	v_cndmask_b32_e32 v9, v9, v11, vcc
	v_cndmask_b32_e32 v8, v8, v10, vcc
	v_mul_f64 v[10:11], v[8:9], s[4:5]
	v_cmp_neq_f64_e64 vcc, |v[8:9]|, s[28:29]
	v_cmp_ngt_f64_e64 s[4:5], s[26:27], v[8:9]
	v_add_f64 v[6:7], v[6:7], -v[12:13]
	v_rndne_f64_e32 v[10:11], v[10:11]
	v_cndmask_b32_e32 v7, 0, v7, vcc
	v_cndmask_b32_e32 v6, 0, v6, vcc
	v_cmp_nlt_f64_e32 vcc, s[24:25], v[8:9]
	v_fma_f64 v[12:13], v[10:11], s[68:69], v[8:9]
	v_fma_f64 v[12:13], v[10:11], s[50:51], v[12:13]
	v_cvt_i32_f64_e32 v10, v[10:11]
	v_fma_f64 v[14:15], v[12:13], s[6:7], v[56:57]
	v_cmp_gt_f64_e64 s[6:7], 0, v[2:3]
	v_fma_f64 v[14:15], v[12:13], v[14:15], s[8:9]
	v_cmp_gt_f64_e64 s[8:9], 0, v[4:5]
	v_fma_f64 v[14:15], v[12:13], v[14:15], s[10:11]
	v_fma_f64 v[14:15], v[12:13], v[14:15], s[12:13]
	v_fma_f64 v[14:15], v[12:13], v[14:15], s[14:15]
	v_fma_f64 v[14:15], v[12:13], v[14:15], s[16:17]
	v_fma_f64 v[14:15], v[12:13], v[14:15], s[18:19]
	v_fma_f64 v[14:15], v[12:13], v[14:15], s[20:21]
	v_fma_f64 v[14:15], v[12:13], v[14:15], s[22:23]
	v_fma_f64 v[14:15], v[12:13], v[14:15], 1.0
	v_fma_f64 v[12:13], v[12:13], v[14:15], 1.0
	v_ldexp_f64 v[10:11], v[12:13], v10
	v_cndmask_b32_e32 v11, v1, v11, vcc
	s_and_b64 vcc, s[4:5], vcc
	v_cndmask_b32_e32 v8, 0, v10, vcc
	v_cndmask_b32_e64 v9, 0, v11, s[4:5]
	v_fma_f64 v[6:7], v[8:9], v[6:7], v[8:9]
	v_cmp_class_f64_e64 vcc, v[8:9], s34
	v_cndmask_b32_e32 v10, v6, v8, vcc
	v_cndmask_b32_e32 v11, v7, v9, vcc
	v_trunc_f64_e32 v[6:7], v[4:5]
	v_cmp_eq_f64_e32 vcc, v[6:7], v[4:5]
	v_mul_f64 v[6:7], v[4:5], 0.5
	v_trunc_f64_e32 v[8:9], v[6:7]
	v_cmp_neq_f64_e64 s[4:5], v[8:9], v[6:7]
	v_cndmask_b32_e32 v8, 0, v10, vcc
	v_cndmask_b32_e64 v8, v10, v8, s[6:7]
	s_and_b64 s[4:5], vcc, s[4:5]
	v_cndmask_b32_e64 v6, v40, v3, s[4:5]
	v_bfi_b32 v6, s35, v11, v6
	v_cndmask_b32_e32 v7, v43, v6, vcc
	v_cndmask_b32_e64 v6, v6, v7, s[6:7]
	v_cmp_class_f64_e64 s[6:7], v[2:3], s34
	v_cmp_eq_f64_e32 vcc, 0, v[2:3]
	v_cndmask_b32_e64 v5, 0, v3, s[4:5]
	s_or_b64 s[6:7], vcc, s[6:7]
	s_xor_b64 s[8:9], s[8:9], vcc
	v_cmp_o_f64_e32 vcc, v[2:3], v[2:3]
	v_cndmask_b32_e64 v4, v1, 0, s[8:9]
	v_bfi_b32 v4, s35, v4, v5
	v_cndmask_b32_e64 v4, v6, v4, s[6:7]
	v_cndmask_b32_e64 v5, v8, 0, s[6:7]
	v_cndmask_b32_e32 v2, 0, v5, vcc
	v_cndmask_b32_e32 v3, v43, v4, vcc
	v_mul_f64 v[4:5], v[2:3], v[28:29]
	buffer_load_dword v2, v45, s[0:3], 0 offen
	buffer_load_dword v3, v45, s[0:3], 0 offen offset:4
	v_cmp_eq_u32_e32 vcc, -1, v44
	v_add_u32_e32 v45, 56, v45
	s_or_b64 s[52:53], vcc, s[52:53]
	s_waitcnt vmcnt(0)
	v_fma_f64 v[46:47], v[2:3], v[4:5], v[46:47]
	s_andn2_b64 exec, exec, s[52:53]
	s_cbranch_execnz .LBB0_294
; %bb.295:                              ;   in Loop: Header=BB0_292 Depth=2
	s_or_b64 exec, exec, s[52:53]
	buffer_load_dword v45, off, s[0:3], s33 offset:692 ; 4-byte Folded Reload
	s_mov_b32 s52, 0x3abe935a
	s_mov_b32 s80, 0x47e6c9c2
	s_mov_b32 s82, 0xcfa74449
	s_mov_b32 s96, 0x71bf3c30
	v_readlane_b32 s6, v62, 3
	s_mov_b32 s53, 0x3fbe25e4
	s_mov_b32 s81, 0x3fc110ef
	;; [unrolled: 1-line block ×4, first 2 shown]
	v_readlane_b32 s7, v62, 4
	s_branch .LBB0_291
.LBB0_296:
	s_or_b64 exec, exec, s[6:7]
	buffer_load_dword v10, off, s[0:3], s33 offset:740 ; 4-byte Folded Reload
	buffer_load_dword v11, off, s[0:3], s33 offset:744 ; 4-byte Folded Reload
	v_readlane_b32 s6, v61, 2
	v_readlane_b32 s7, v61, 3
.LBB0_297:
	s_or_b64 exec, exec, s[6:7]
	buffer_load_dword v1, off, s[0:3], s33 offset:1032 ; 4-byte Folded Reload
	buffer_load_dword v2, off, s[0:3], s33 offset:1036 ; 4-byte Folded Reload
	s_mov_b32 s4, 0
	s_brev_b32 s5, 8
	v_mov_b32_e32 v0, 0x100
	v_readlane_b32 s30, v63, 34
	v_readlane_b32 s31, v63, 35
	;; [unrolled: 1-line block ×36, first 2 shown]
	s_mov_b32 s32, s33
	s_waitcnt vmcnt(0)
	v_cmp_gt_f64_e32 vcc, s[4:5], v[1:2]
	s_mov_b32 s4, 0x50429b6d
	s_mov_b32 s5, 0x3ff20dd7
	v_cndmask_b32_e32 v0, 0, v0, vcc
	v_ldexp_f64 v[0:1], v[1:2], v0
	v_rsq_f64_e32 v[2:3], v[0:1]
	v_mul_f64 v[4:5], v[0:1], v[2:3]
	v_mul_f64 v[2:3], v[2:3], 0.5
	v_fma_f64 v[6:7], -v[2:3], v[4:5], 0.5
	v_fma_f64 v[4:5], v[4:5], v[6:7], v[4:5]
	v_fma_f64 v[2:3], v[2:3], v[6:7], v[2:3]
	v_fma_f64 v[6:7], -v[4:5], v[4:5], v[0:1]
	v_fma_f64 v[4:5], v[6:7], v[2:3], v[4:5]
	v_fma_f64 v[6:7], -v[4:5], v[4:5], v[0:1]
	v_fma_f64 v[2:3], v[6:7], v[2:3], v[4:5]
	v_mov_b32_e32 v4, 0xffffff80
	v_mov_b32_e32 v5, 0x260
	v_cndmask_b32_e32 v4, 0, v4, vcc
	v_cmp_class_f64_e32 vcc, v[0:1], v5
	v_ldexp_f64 v[2:3], v[2:3], v4
	v_cndmask_b32_e32 v1, v3, v1, vcc
	v_cndmask_b32_e32 v0, v2, v0, vcc
	buffer_load_dword v2, off, s[0:3], s33 offset:968 ; 4-byte Folded Reload
	buffer_load_dword v3, off, s[0:3], s33 offset:972 ; 4-byte Folded Reload
	;; [unrolled: 1-line block ×4, first 2 shown]
	v_mul_f64 v[0:1], v[0:1], s[4:5]
	v_readlane_b32 s4, v63, 36
	s_waitcnt vmcnt(0)
	v_mul_f64 v[0:1], v[4:5], v[0:1]
	buffer_load_dword v2, off, s[0:3], s33 offset:984 ; 4-byte Folded Reload
	buffer_load_dword v3, off, s[0:3], s33 offset:988 ; 4-byte Folded Reload
	buffer_load_dword v4, off, s[0:3], s33 offset:992 ; 4-byte Folded Reload
	buffer_load_dword v5, off, s[0:3], s33 offset:996 ; 4-byte Folded Reload
	s_waitcnt vmcnt(0)
	v_mul_f64 v[0:1], v[4:5], v[0:1]
	buffer_load_dword v2, off, s[0:3], s33 offset:1000 ; 4-byte Folded Reload
	buffer_load_dword v3, off, s[0:3], s33 offset:1004 ; 4-byte Folded Reload
	buffer_load_dword v4, off, s[0:3], s33 offset:1008 ; 4-byte Folded Reload
	buffer_load_dword v5, off, s[0:3], s33 offset:1012 ; 4-byte Folded Reload
	;; [unrolled: 6-line block ×3, first 2 shown]
	buffer_load_dword v60, off, s[0:3], s33 ; 4-byte Folded Reload
	buffer_load_dword v59, off, s[0:3], s33 offset:4 ; 4-byte Folded Reload
	buffer_load_dword v58, off, s[0:3], s33 offset:8 ; 4-byte Folded Reload
	;; [unrolled: 1-line block ×12, first 2 shown]
	s_waitcnt vmcnt(13)
	v_mul_f64 v[0:1], v[4:5], v[0:1]
	v_mul_f64 v[0:1], v[0:1], v[10:11]
	s_or_saveexec_b64 s[6:7], -1
	buffer_load_dword v63, off, s[0:3], s33 offset:1040 ; 4-byte Folded Reload
	buffer_load_dword v61, off, s[0:3], s33 offset:1044 ; 4-byte Folded Reload
	;; [unrolled: 1-line block ×3, first 2 shown]
	s_mov_b64 exec, s[6:7]
	s_mov_b32 s33, s4
	s_waitcnt vmcnt(0)
	s_setpc_b64 s[30:31]
.LBB0_298:
	s_or_b64 exec, exec, s[12:13]
                                        ; implicit-def: $vgpr50_vgpr51
	s_andn2_saveexec_b64 s[10:11], s[10:11]
	s_cbranch_execnz .LBB0_175
.LBB0_299:
	s_or_b64 exec, exec, s[10:11]
                                        ; implicit-def: $vgpr50_vgpr51
	s_andn2_saveexec_b64 s[8:9], s[8:9]
	s_cbranch_execnz .LBB0_189
.LBB0_300:
	s_or_b64 exec, exec, s[8:9]
                                        ; implicit-def: $vgpr50_vgpr51
	s_andn2_saveexec_b64 s[6:7], s[6:7]
	s_cbranch_execnz .LBB0_203
	s_branch .LBB0_216
.Lfunc_end0:
	.size	_Z15cuda_rys_pbf_dpPKdS0_S0_S0_, .Lfunc_end0-_Z15cuda_rys_pbf_dpPKdS0_S0_S0_
                                        ; -- End function
	.set .L_Z15cuda_rys_pbf_dpPKdS0_S0_S0_.num_vgpr, max(64, amdgpu.max_num_vgpr)
	.set .L_Z15cuda_rys_pbf_dpPKdS0_S0_S0_.num_agpr, max(0, amdgpu.max_num_agpr)
	.set .L_Z15cuda_rys_pbf_dpPKdS0_S0_S0_.numbered_sgpr, max(100, amdgpu.max_num_sgpr)
	.set .L_Z15cuda_rys_pbf_dpPKdS0_S0_S0_.num_named_barrier, max(0, amdgpu.max_num_named_barrier)
	.set .L_Z15cuda_rys_pbf_dpPKdS0_S0_S0_.private_seg_size, 1056
	.set .L_Z15cuda_rys_pbf_dpPKdS0_S0_S0_.uses_vcc, 1
	.set .L_Z15cuda_rys_pbf_dpPKdS0_S0_S0_.uses_flat_scratch, 1
	.set .L_Z15cuda_rys_pbf_dpPKdS0_S0_S0_.has_dyn_sized_stack, 1
	.set .L_Z15cuda_rys_pbf_dpPKdS0_S0_S0_.has_recursion, 1
	.set .L_Z15cuda_rys_pbf_dpPKdS0_S0_S0_.has_indirect_call, 1
	.section	.AMDGPU.csdata,"",@progbits
; Function info:
; codeLenInByte = 102052
; TotalNumSgprs: .L_Z15cuda_rys_pbf_dpPKdS0_S0_S0_.numbered_sgpr+6
; NumVgprs: max(64, amdgpu.max_num_vgpr)
; ScratchSize: 1056
; MemoryBound: 0
	.text
	.protected	_Z16cuda_mat_J_PI_dpPKdPKiiS0_PdS0_ ; -- Begin function _Z16cuda_mat_J_PI_dpPKdPKiiS0_PdS0_
	.globl	_Z16cuda_mat_J_PI_dpPKdPKiiS0_PdS0_
	.p2align	8
	.type	_Z16cuda_mat_J_PI_dpPKdPKiiS0_PdS0_,@function
_Z16cuda_mat_J_PI_dpPKdPKiiS0_PdS0_:    ; @_Z16cuda_mat_J_PI_dpPKdPKiiS0_PdS0_
; %bb.0:
	s_mov_b64 s[52:53], s[8:9]
	s_load_dword s8, s[8:9], 0x10
	s_add_u32 flat_scratch_lo, s12, s17
	s_addc_u32 flat_scratch_hi, s13, 0
	s_add_u32 s0, s0, s17
	s_addc_u32 s1, s1, 0
	s_waitcnt lgkmcnt(0)
	s_cmp_ge_i32 s14, s8
	s_mov_b64 s[64:65], s[4:5]
	s_cselect_b64 s[4:5], -1, 0
	s_cmp_gt_i32 s15, s14
	s_mov_b64 s[54:55], s[6:7]
	s_cselect_b64 s[6:7], -1, 0
	s_or_b64 s[4:5], s[6:7], s[4:5]
	s_and_b64 vcc, exec, s[4:5]
	s_movk_i32 s32, 0x1000
	s_cbranch_vccnz .LBB1_11
; %bb.1:
	s_load_dwordx2 s[66:67], s[52:53], 0x8
	s_load_dwordx2 s[4:5], s[52:53], 0x20
	v_mov_b32_e32 v40, v1
                                        ; implicit-def: $vgpr63 : SGPR spill to VGPR lane
	v_mov_b32_e32 v41, v0
	s_add_u32 s34, s52, 48
	v_lshlrev_b32_e32 v0, 20, v2
	s_waitcnt lgkmcnt(0)
	v_writelane_b32 v63, s4, 0
	v_lshlrev_b32_e32 v1, 10, v40
	s_mov_b32 s48, s14
	v_writelane_b32 v63, s5, 1
	s_addc_u32 s35, s53, 0
	v_or3_b32 v42, v41, v1, v0
	s_getpc_b64 s[36:37]
	s_add_u32 s36, s36, _Z16cuda_ij2intindexii@rel32@lo+4
	s_addc_u32 s37, s37, _Z16cuda_ij2intindexii@rel32@hi+12
	s_mov_b64 s[4:5], s[64:65]
	s_mov_b64 s[6:7], s[54:55]
	v_writelane_b32 v63, s8, 2
	s_mov_b64 s[8:9], s[34:35]
	s_mov_b32 s12, s14
	s_mov_b32 s13, s15
	;; [unrolled: 1-line block ×3, first 2 shown]
	v_mov_b32_e32 v31, v42
	v_mov_b32_e32 v0, s48
	;; [unrolled: 1-line block ×3, first 2 shown]
	s_mov_b32 s33, s16
	s_mov_b32 s38, s15
	s_mov_b64 s[50:51], s[10:11]
	s_swappc_b64 s[30:31], s[36:37]
	s_ashr_i32 s49, s48, 31
	s_lshl_b64 s[4:5], s[48:49], 2
	s_add_u32 s4, s66, s4
	s_addc_u32 s5, s67, s5
	s_ashr_i32 s39, s38, 31
	s_lshl_b64 s[6:7], s[38:39], 2
	buffer_store_dword v0, off, s[0:3], 0 offset:52 ; 4-byte Folded Spill
	s_nop 0
	buffer_store_dword v1, off, s[0:3], 0 offset:56 ; 4-byte Folded Spill
	s_add_u32 s6, s66, s6
	v_writelane_b32 v63, s66, 3
	s_addc_u32 s7, s67, s7
	s_load_dword s15, s[4:5], 0x0
	s_load_dword s16, s[6:7], 0x0
	s_mov_b64 s[4:5], s[64:65]
	s_mov_b64 s[6:7], s[54:55]
	;; [unrolled: 1-line block ×4, first 2 shown]
	s_mov_b32 s12, s48
	s_mov_b32 s13, s38
	s_mov_b32 s14, s33
	v_mov_b32_e32 v31, v42
	s_waitcnt lgkmcnt(0)
	v_mov_b32_e32 v0, s15
	v_mov_b32_e32 v1, s16
	v_writelane_b32 v63, s67, 4
	s_swappc_b64 s[30:31], s[36:37]
	s_load_dword s4, s[52:53], 0x10
	v_lshlrev_b32_e32 v46, 3, v40
	v_mov_b32_e32 v61, 0
	v_lshl_add_u32 v47, v41, 6, v46
	v_mov_b32_e32 v60, v61
	ds_write_b64 v47, v[60:61]
	s_waitcnt lgkmcnt(0)
	v_cmp_gt_i32_e32 vcc, s4, v41
	s_mov_b64 s[4:5], exec
	v_writelane_b32 v63, s4, 5
	v_writelane_b32 v63, s5, 6
	s_and_b64 s[4:5], s[4:5], vcc
	s_mov_b64 exec, s[4:5]
	s_cbranch_execz .LBB1_9
; %bb.2:
	s_load_dwordx2 s[6:7], s[52:53], 0x0
	s_load_dwordx2 s[34:35], s[52:53], 0x18
	s_load_dwordx2 s[36:37], s[52:53], 0x28
	s_lshl_b32 s4, s48, 3
	s_ashr_i32 s5, s4, 31
	s_lshl_b64 s[4:5], s[4:5], 3
	s_waitcnt lgkmcnt(0)
	s_add_u32 s4, s6, s4
	v_writelane_b32 v63, s4, 7
	s_addc_u32 s4, s7, s5
	v_writelane_b32 v63, s4, 8
	s_lshl_b32 s4, s38, 3
	s_ashr_i32 s5, s4, 31
	s_lshl_b64 s[4:5], s[4:5], 3
	s_add_u32 s4, s6, s4
	v_writelane_b32 v63, s4, 9
	v_writelane_b32 v63, s6, 10
	;; [unrolled: 1-line block ×3, first 2 shown]
	s_addc_u32 s4, s7, s5
	v_writelane_b32 v63, s4, 12
	v_writelane_b32 v63, s33, 13
	v_writelane_b32 v63, s38, 14
	v_writelane_b32 v63, s39, 15
	v_writelane_b32 v63, s48, 16
	v_writelane_b32 v63, s49, 17
	v_writelane_b32 v63, s50, 18
	v_writelane_b32 v63, s51, 19
	s_load_dwordx2 s[4:5], s[52:53], 0x8
	v_writelane_b32 v63, s52, 20
	v_ashrrev_i32_e32 v1, 31, v0
	v_writelane_b32 v63, s53, 21
	v_lshlrev_b64 v[0:1], 3, v[0:1]
	v_writelane_b32 v63, s54, 22
	v_writelane_b32 v63, s55, 23
	v_mov_b32_e32 v56, s37
	v_add_co_u32_e32 v0, vcc, s36, v0
	v_writelane_b32 v63, s64, 24
	v_addc_co_u32_e32 v1, vcc, v56, v1, vcc
	v_writelane_b32 v63, s65, 25
	buffer_store_dword v0, off, s[0:3], 0 offset:16 ; 4-byte Folded Spill
	s_nop 0
	buffer_store_dword v1, off, s[0:3], 0 offset:20 ; 4-byte Folded Spill
	v_writelane_b32 v63, s34, 26
	v_lshlrev_b32_e32 v0, 2, v40
	v_writelane_b32 v63, s35, 27
	s_waitcnt lgkmcnt(0)
	v_mov_b32_e32 v57, s5
	v_add_co_u32_e32 v0, vcc, s4, v0
	s_mov_b32 s66, 0x97d889bc
	v_writelane_b32 v63, s36, 28
	v_addc_co_u32_e32 v1, vcc, 0, v57, vcc
	s_mov_b64 s[4:5], 0
	s_mov_b32 s67, 0x3c9cd2b2
	v_mov_b32_e32 v58, 0x3ff00000
	v_mov_b32_e32 v3, v41
	v_writelane_b32 v63, s37, 29
	buffer_store_dword v0, off, s[0:3], 0 offset:44 ; 4-byte Folded Spill
	s_nop 0
	buffer_store_dword v1, off, s[0:3], 0 offset:48 ; 4-byte Folded Spill
	s_branch .LBB1_4
.LBB1_3:                                ;   in Loop: Header=BB1_4 Depth=1
	v_readlane_b32 s4, v63, 32
	v_readlane_b32 s5, v63, 33
	s_or_b64 exec, exec, s[4:5]
	v_readlane_b32 s6, v63, 30
	v_add_u32_e32 v3, 8, v3
	v_readlane_b32 s4, v63, 2
	v_readlane_b32 s7, v63, 31
	v_cmp_le_i32_e32 vcc, s4, v3
	s_or_b64 s[4:5], vcc, s[6:7]
	s_andn2_b64 exec, exec, s[4:5]
	s_cbranch_execz .LBB1_9
.LBB1_4:                                ; =>This Loop Header: Depth=1
                                        ;     Child Loop BB1_7 Depth 2
	v_writelane_b32 v63, s4, 30
	v_writelane_b32 v63, s5, 31
	v_cmp_le_u32_e32 vcc, v40, v3
	s_mov_b64 s[4:5], exec
	v_writelane_b32 v63, s4, 32
	v_writelane_b32 v63, s5, 33
	s_and_b64 s[4:5], s[4:5], vcc
	s_mov_b64 exec, s[4:5]
	s_cbranch_execz .LBB1_3
; %bb.5:                                ;   in Loop: Header=BB1_4 Depth=1
	s_waitcnt vmcnt(0)
	v_mov_b32_e32 v4, v61
	v_lshlrev_b64 v[0:1], 2, v[3:4]
	v_readlane_b32 s4, v63, 3
	v_add_co_u32_e32 v0, vcc, s4, v0
	v_readlane_b32 s5, v63, 4
	v_addc_co_u32_e32 v1, vcc, v57, v1, vcc
	v_lshlrev_b32_e32 v60, 3, v3
	global_load_dword v43, v[0:1], off
	v_lshlrev_b64 v[0:1], 3, v[60:61]
	v_readlane_b32 s4, v63, 10
	v_readlane_b32 s5, v63, 11
	v_mov_b32_e32 v2, s5
	v_add_co_u32_e32 v44, vcc, s4, v0
	v_addc_co_u32_e32 v45, vcc, v2, v1, vcc
	buffer_load_dword v0, off, s[0:3], 0 offset:44 ; 4-byte Folded Reload
	buffer_load_dword v1, off, s[0:3], 0 offset:48 ; 4-byte Folded Reload
	s_mov_b64 s[68:69], 0
	v_mov_b32_e32 v60, v46
	v_mov_b32_e32 v59, v40
	buffer_store_dword v3, off, s[0:3], 0 offset:8 ; 4-byte Folded Spill
	s_nop 0
	buffer_store_dword v4, off, s[0:3], 0 offset:12 ; 4-byte Folded Spill
	s_branch .LBB1_7
.LBB1_6:                                ;   in Loop: Header=BB1_7 Depth=2
	s_or_b64 exec, exec, s[6:7]
	buffer_load_dword v0, off, s[0:3], 0    ; 4-byte Folded Reload
	buffer_load_dword v1, off, s[0:3], 0 offset:4 ; 4-byte Folded Reload
	buffer_load_dword v3, off, s[0:3], 0 offset:8 ; 4-byte Folded Reload
	;; [unrolled: 1-line block ×3, first 2 shown]
	v_add_u32_e32 v59, 8, v59
	v_add_u32_e32 v60, 64, v60
	s_waitcnt vmcnt(3)
	v_add_co_u32_e32 v0, vcc, 32, v0
	s_waitcnt vmcnt(2)
	v_addc_co_u32_e32 v1, vcc, 0, v1, vcc
	s_waitcnt vmcnt(1)
	v_cmp_gt_u32_e32 vcc, v59, v3
	s_or_b64 s[68:69], vcc, s[68:69]
	s_andn2_b64 exec, exec, s[68:69]
	s_cbranch_execz .LBB1_3
.LBB1_7:                                ;   Parent Loop BB1_4 Depth=1
                                        ; =>  This Inner Loop Header: Depth=2
	s_waitcnt vmcnt(3)
	buffer_store_dword v0, off, s[0:3], 0   ; 4-byte Folded Spill
	s_waitcnt vmcnt(3)
	buffer_store_dword v1, off, s[0:3], 0 offset:4 ; 4-byte Folded Spill
	s_add_u32 s8, s52, 48
	s_addc_u32 s9, s53, 0
	s_getpc_b64 s[16:17]
	s_add_u32 s16, s16, _Z16cuda_ij2intindexii@rel32@lo+4
	s_addc_u32 s17, s17, _Z16cuda_ij2intindexii@rel32@hi+12
	s_mov_b64 s[4:5], s[64:65]
	s_mov_b64 s[6:7], s[54:55]
	;; [unrolled: 1-line block ×3, first 2 shown]
	s_mov_b32 s12, s48
	s_mov_b32 s13, s38
	;; [unrolled: 1-line block ×3, first 2 shown]
	v_mov_b32_e32 v31, v42
	global_load_dword v1, v[0:1], off
	v_mov_b32_e32 v0, v43
	s_swappc_b64 s[30:31], s[16:17]
	buffer_load_dword v4, off, s[0:3], 0 offset:16 ; 4-byte Folded Reload
	buffer_load_dword v5, off, s[0:3], 0 offset:20 ; 4-byte Folded Reload
	v_ashrrev_i32_e32 v1, 31, v0
	v_lshlrev_b64 v[0:1], 3, v[0:1]
	v_add_co_u32_e32 v2, vcc, s36, v0
	v_addc_co_u32_e32 v3, vcc, v56, v1, vcc
	v_add_co_u32_e32 v0, vcc, s34, v0
	s_waitcnt vmcnt(0)
	global_load_dwordx2 v[4:5], v[4:5], off
	s_nop 0
	global_load_dwordx2 v[6:7], v[2:3], off
	v_mov_b32_e32 v2, s35
	v_addc_co_u32_e32 v1, vcc, v2, v1, vcc
	global_load_dwordx2 v[2:3], v[0:1], off
	s_waitcnt vmcnt(1)
	v_mul_f64 v[0:1], v[4:5], v[6:7]
	s_waitcnt vmcnt(0)
	v_mul_f64 v[0:1], v[0:1], v[2:3]
	v_cmp_nlt_f64_e64 s[4:5], |v[0:1]|, s[66:67]
	s_and_saveexec_b64 s[6:7], s[4:5]
	s_cbranch_execz .LBB1_6
; %bb.8:                                ;   in Loop: Header=BB1_7 Depth=2
	v_readlane_b32 s4, v63, 10
	v_readlane_b32 s5, v63, 11
	v_writelane_b32 v63, s6, 34
	v_lshlrev_b64 v[0:1], 3, v[60:61]
	v_writelane_b32 v63, s7, 35
	buffer_store_dword v2, off, s[0:3], 0 offset:36 ; 4-byte Folded Spill
	s_nop 0
	buffer_store_dword v3, off, s[0:3], 0 offset:40 ; 4-byte Folded Spill
	v_readlane_b32 s15, v63, 7
	v_mov_b32_e32 v2, s5
	v_add_co_u32_e32 v6, vcc, s4, v0
	v_mov_b32_e32 v0, s15
	v_readlane_b32 s15, v63, 8
	v_addc_co_u32_e32 v7, vcc, v2, v1, vcc
	v_mov_b32_e32 v1, s15
	v_readlane_b32 s15, v63, 9
	s_add_u32 s8, s52, 48
	v_mov_b32_e32 v2, s15
	v_readlane_b32 s15, v63, 12
	v_writelane_b32 v63, s68, 36
	s_addc_u32 s9, s53, 0
	s_mov_b64 s[6:7], s[54:55]
	v_writelane_b32 v63, s69, 37
	s_getpc_b64 s[16:17]
	s_add_u32 s16, s16, _Z15cuda_rys_pbf_dpPKdS0_S0_S0_@rel32@lo+4
	s_addc_u32 s17, s17, _Z15cuda_rys_pbf_dpPKdS0_S0_S0_@rel32@hi+12
	s_mov_b64 s[4:5], s[64:65]
	s_mov_b64 s[10:11], s[50:51]
	s_mov_b32 s12, s48
	s_mov_b32 s13, s38
	;; [unrolled: 1-line block ×3, first 2 shown]
	v_mov_b32_e32 v31, v42
	v_mov_b32_e32 v3, s15
	;; [unrolled: 1-line block ×4, first 2 shown]
	s_or_saveexec_b64 s[100:101], -1
	buffer_store_dword v63, off, s[0:3], 0 offset:24 ; 4-byte Folded Spill
	s_mov_b64 exec, s[100:101]
	buffer_store_dword v60, off, s[0:3], 0 offset:28 ; 4-byte Folded Spill
	s_nop 0
	buffer_store_dword v61, off, s[0:3], 0 offset:32 ; 4-byte Folded Spill
	s_swappc_b64 s[30:31], s[16:17]
	buffer_load_dword v60, off, s[0:3], 0 offset:28 ; 4-byte Folded Reload
	buffer_load_dword v61, off, s[0:3], 0 offset:32 ; 4-byte Folded Reload
	s_or_saveexec_b64 s[100:101], -1
	buffer_load_dword v63, off, s[0:3], 0 offset:24 ; 4-byte Folded Reload
	s_mov_b64 exec, s[100:101]
	buffer_load_dword v2, off, s[0:3], 0 offset:36 ; 4-byte Folded Reload
	buffer_load_dword v3, off, s[0:3], 0 offset:40 ; 4-byte Folded Reload
	s_waitcnt vmcnt(2)
	v_readlane_b32 s6, v63, 34
	v_readlane_b32 s68, v63, 36
	s_mov_b32 s66, 0x97d889bc
	v_readlane_b32 s34, v63, 26
	v_readlane_b32 s64, v63, 24
	;; [unrolled: 1-line block ×7, first 2 shown]
	s_mov_b32 s67, 0x3c9cd2b2
	v_readlane_b32 s36, v63, 28
	v_readlane_b32 s35, v63, 27
	;; [unrolled: 1-line block ×12, first 2 shown]
	s_waitcnt vmcnt(0)
	v_mul_f64 v[0:1], v[2:3], v[0:1]
	ds_read_b64 v[2:3], v47
	buffer_load_dword v4, off, s[0:3], 0 offset:8 ; 4-byte Folded Reload
	buffer_load_dword v5, off, s[0:3], 0 offset:12 ; 4-byte Folded Reload
	s_waitcnt vmcnt(1)
	v_cmp_eq_u32_e32 vcc, v4, v59
	s_waitcnt vmcnt(0)
	v_cndmask_b32_e32 v5, 2.0, v58, vcc
	v_mov_b32_e32 v4, v61
	s_waitcnt lgkmcnt(0)
	v_fma_f64 v[0:1], v[4:5], v[0:1], v[2:3]
	ds_write_b64 v47, v[0:1]
	s_branch .LBB1_6
.LBB1_9:
	v_readlane_b32 s4, v63, 5
	v_readlane_b32 s5, v63, 6
	s_or_b64 exec, exec, s[4:5]
	v_or_b32_e32 v0, v41, v40
	v_cmp_eq_u32_e32 vcc, 0, v0
	s_waitcnt vmcnt(0) lgkmcnt(0)
	s_barrier
	s_and_saveexec_b64 s[4:5], vcc
	s_cbranch_execz .LBB1_11
; %bb.10:
	v_mov_b32_e32 v0, 0
	ds_read_b128 v[1:4], v0
	ds_read_b128 v[5:8], v0 offset:16
	v_readlane_b32 s4, v63, 0
	v_readlane_b32 s5, v63, 1
	s_waitcnt lgkmcnt(1)
	v_add_f64 v[1:2], v[1:2], 0
	v_add_f64 v[1:2], v[3:4], v[1:2]
	s_waitcnt lgkmcnt(0)
	v_add_f64 v[1:2], v[5:6], v[1:2]
	v_add_f64 v[9:10], v[7:8], v[1:2]
	ds_read_b128 v[1:4], v0 offset:32
	ds_read_b128 v[5:8], v0 offset:48
	s_waitcnt lgkmcnt(1)
	v_add_f64 v[1:2], v[1:2], v[9:10]
	v_add_f64 v[1:2], v[3:4], v[1:2]
	s_waitcnt lgkmcnt(0)
	v_add_f64 v[1:2], v[5:6], v[1:2]
	v_add_f64 v[9:10], v[7:8], v[1:2]
	ds_read_b128 v[1:4], v0 offset:64
	ds_read_b128 v[5:8], v0 offset:80
	s_waitcnt lgkmcnt(1)
	v_add_f64 v[1:2], v[1:2], v[9:10]
	v_add_f64 v[1:2], v[3:4], v[1:2]
	s_waitcnt lgkmcnt(0)
	v_add_f64 v[1:2], v[5:6], v[1:2]
	v_add_f64 v[9:10], v[7:8], v[1:2]
	ds_read_b128 v[1:4], v0 offset:96
	ds_read_b128 v[5:8], v0 offset:112
	s_waitcnt lgkmcnt(1)
	v_add_f64 v[1:2], v[1:2], v[9:10]
	v_add_f64 v[1:2], v[3:4], v[1:2]
	s_waitcnt lgkmcnt(0)
	v_add_f64 v[1:2], v[5:6], v[1:2]
	v_add_f64 v[9:10], v[7:8], v[1:2]
	ds_read_b128 v[1:4], v0 offset:128
	ds_read_b128 v[5:8], v0 offset:144
	s_waitcnt lgkmcnt(1)
	v_add_f64 v[1:2], v[1:2], v[9:10]
	v_add_f64 v[1:2], v[3:4], v[1:2]
	s_waitcnt lgkmcnt(0)
	v_add_f64 v[1:2], v[5:6], v[1:2]
	v_add_f64 v[9:10], v[7:8], v[1:2]
	ds_read_b128 v[1:4], v0 offset:160
	ds_read_b128 v[5:8], v0 offset:176
	s_waitcnt lgkmcnt(1)
	v_add_f64 v[1:2], v[1:2], v[9:10]
	v_add_f64 v[1:2], v[3:4], v[1:2]
	s_waitcnt lgkmcnt(0)
	v_add_f64 v[1:2], v[5:6], v[1:2]
	v_add_f64 v[9:10], v[7:8], v[1:2]
	ds_read_b128 v[1:4], v0 offset:192
	ds_read_b128 v[5:8], v0 offset:208
	s_waitcnt lgkmcnt(1)
	v_add_f64 v[1:2], v[1:2], v[9:10]
	v_add_f64 v[1:2], v[3:4], v[1:2]
	s_waitcnt lgkmcnt(0)
	v_add_f64 v[1:2], v[5:6], v[1:2]
	v_add_f64 v[9:10], v[7:8], v[1:2]
	ds_read_b128 v[1:4], v0 offset:224
	ds_read_b128 v[5:8], v0 offset:240
	s_waitcnt lgkmcnt(1)
	v_add_f64 v[1:2], v[1:2], v[9:10]
	v_add_f64 v[1:2], v[3:4], v[1:2]
	s_waitcnt lgkmcnt(0)
	v_add_f64 v[1:2], v[5:6], v[1:2]
	v_add_f64 v[9:10], v[7:8], v[1:2]
	ds_read_b128 v[1:4], v0 offset:256
	ds_read_b128 v[5:8], v0 offset:272
	s_waitcnt lgkmcnt(1)
	v_add_f64 v[1:2], v[1:2], v[9:10]
	v_add_f64 v[1:2], v[3:4], v[1:2]
	s_waitcnt lgkmcnt(0)
	v_add_f64 v[1:2], v[5:6], v[1:2]
	v_add_f64 v[9:10], v[7:8], v[1:2]
	ds_read_b128 v[1:4], v0 offset:288
	ds_read_b128 v[5:8], v0 offset:304
	s_waitcnt lgkmcnt(1)
	v_add_f64 v[1:2], v[1:2], v[9:10]
	v_add_f64 v[1:2], v[3:4], v[1:2]
	s_waitcnt lgkmcnt(0)
	v_add_f64 v[1:2], v[5:6], v[1:2]
	v_add_f64 v[9:10], v[7:8], v[1:2]
	ds_read_b128 v[1:4], v0 offset:320
	ds_read_b128 v[5:8], v0 offset:336
	s_waitcnt lgkmcnt(1)
	v_add_f64 v[1:2], v[1:2], v[9:10]
	v_add_f64 v[1:2], v[3:4], v[1:2]
	s_waitcnt lgkmcnt(0)
	v_add_f64 v[1:2], v[5:6], v[1:2]
	v_add_f64 v[9:10], v[7:8], v[1:2]
	ds_read_b128 v[1:4], v0 offset:352
	ds_read_b128 v[5:8], v0 offset:368
	s_waitcnt lgkmcnt(1)
	v_add_f64 v[1:2], v[1:2], v[9:10]
	v_add_f64 v[1:2], v[3:4], v[1:2]
	s_waitcnt lgkmcnt(0)
	v_add_f64 v[1:2], v[5:6], v[1:2]
	v_add_f64 v[9:10], v[7:8], v[1:2]
	ds_read_b128 v[1:4], v0 offset:384
	ds_read_b128 v[5:8], v0 offset:400
	s_waitcnt lgkmcnt(1)
	v_add_f64 v[1:2], v[1:2], v[9:10]
	v_add_f64 v[1:2], v[3:4], v[1:2]
	s_waitcnt lgkmcnt(0)
	v_add_f64 v[1:2], v[5:6], v[1:2]
	v_add_f64 v[9:10], v[7:8], v[1:2]
	ds_read_b128 v[1:4], v0 offset:416
	ds_read_b128 v[5:8], v0 offset:432
	s_waitcnt lgkmcnt(1)
	v_add_f64 v[1:2], v[1:2], v[9:10]
	v_add_f64 v[1:2], v[3:4], v[1:2]
	s_waitcnt lgkmcnt(0)
	v_add_f64 v[1:2], v[5:6], v[1:2]
	v_add_f64 v[9:10], v[7:8], v[1:2]
	ds_read_b128 v[1:4], v0 offset:448
	ds_read_b128 v[5:8], v0 offset:464
	s_waitcnt lgkmcnt(1)
	v_add_f64 v[1:2], v[1:2], v[9:10]
	v_add_f64 v[1:2], v[3:4], v[1:2]
	s_waitcnt lgkmcnt(0)
	v_add_f64 v[1:2], v[5:6], v[1:2]
	v_add_f64 v[9:10], v[7:8], v[1:2]
	ds_read_b128 v[1:4], v0 offset:480
	ds_read_b128 v[5:8], v0 offset:496
	s_waitcnt lgkmcnt(1)
	v_add_f64 v[0:1], v[1:2], v[9:10]
	v_add_f64 v[0:1], v[3:4], v[0:1]
	buffer_load_dword v2, off, s[0:3], 0 offset:52 ; 4-byte Folded Reload
	buffer_load_dword v3, off, s[0:3], 0 offset:56 ; 4-byte Folded Reload
	v_mov_b32_e32 v4, s5
	s_waitcnt lgkmcnt(0)
	v_add_f64 v[0:1], v[5:6], v[0:1]
	v_add_f64 v[0:1], v[7:8], v[0:1]
	s_waitcnt vmcnt(0)
	v_ashrrev_i32_e32 v3, 31, v2
	v_lshlrev_b64 v[2:3], 3, v[2:3]
	v_add_co_u32_e32 v2, vcc, s4, v2
	v_addc_co_u32_e32 v3, vcc, v4, v3, vcc
	global_store_dwordx2 v[2:3], v[0:1], off
.LBB1_11:
	s_endpgm
	.section	.rodata,"a",@progbits
	.p2align	6, 0x0
	.amdhsa_kernel _Z16cuda_mat_J_PI_dpPKdPKiiS0_PdS0_
		.amdhsa_group_segment_fixed_size 512
		.amdhsa_private_segment_fixed_size 1120
		.amdhsa_kernarg_size 304
		.amdhsa_user_sgpr_count 14
		.amdhsa_user_sgpr_private_segment_buffer 1
		.amdhsa_user_sgpr_dispatch_ptr 1
		.amdhsa_user_sgpr_queue_ptr 1
		.amdhsa_user_sgpr_kernarg_segment_ptr 1
		.amdhsa_user_sgpr_dispatch_id 1
		.amdhsa_user_sgpr_flat_scratch_init 1
		.amdhsa_user_sgpr_private_segment_size 0
		.amdhsa_uses_dynamic_stack 1
		.amdhsa_system_sgpr_private_segment_wavefront_offset 1
		.amdhsa_system_sgpr_workgroup_id_x 1
		.amdhsa_system_sgpr_workgroup_id_y 1
		.amdhsa_system_sgpr_workgroup_id_z 1
		.amdhsa_system_sgpr_workgroup_info 0
		.amdhsa_system_vgpr_workitem_id 2
		.amdhsa_next_free_vgpr max(totalnumvgprs(_Z16cuda_mat_J_PI_dpPKdPKiiS0_PdS0_.num_agpr, _Z16cuda_mat_J_PI_dpPKdPKiiS0_PdS0_.num_vgpr), 1, 0)
		.amdhsa_next_free_sgpr max(_Z16cuda_mat_J_PI_dpPKdPKiiS0_PdS0_.numbered_sgpr+6, 1, 0)-6
		.amdhsa_reserve_vcc 1
		.amdhsa_reserve_flat_scratch 1
		.amdhsa_float_round_mode_32 0
		.amdhsa_float_round_mode_16_64 0
		.amdhsa_float_denorm_mode_32 3
		.amdhsa_float_denorm_mode_16_64 3
		.amdhsa_dx10_clamp 1
		.amdhsa_ieee_mode 1
		.amdhsa_fp16_overflow 0
		.amdhsa_exception_fp_ieee_invalid_op 0
		.amdhsa_exception_fp_denorm_src 0
		.amdhsa_exception_fp_ieee_div_zero 0
		.amdhsa_exception_fp_ieee_overflow 0
		.amdhsa_exception_fp_ieee_underflow 0
		.amdhsa_exception_fp_ieee_inexact 0
		.amdhsa_exception_int_div_zero 0
	.end_amdhsa_kernel
	.text
.Lfunc_end1:
	.size	_Z16cuda_mat_J_PI_dpPKdPKiiS0_PdS0_, .Lfunc_end1-_Z16cuda_mat_J_PI_dpPKdPKiiS0_PdS0_
                                        ; -- End function
	.set _Z16cuda_mat_J_PI_dpPKdPKiiS0_PdS0_.num_vgpr, max(64, amdgpu.max_num_vgpr)
	.set _Z16cuda_mat_J_PI_dpPKdPKiiS0_PdS0_.num_agpr, max(0, amdgpu.max_num_agpr)
	.set _Z16cuda_mat_J_PI_dpPKdPKiiS0_PdS0_.numbered_sgpr, max(102, amdgpu.max_num_sgpr)
	.set _Z16cuda_mat_J_PI_dpPKdPKiiS0_PdS0_.num_named_barrier, max(0, amdgpu.max_num_named_barrier)
	.set _Z16cuda_mat_J_PI_dpPKdPKiiS0_PdS0_.private_seg_size, 64+max(.L_Z15cuda_rys_pbf_dpPKdS0_S0_S0_.private_seg_size)
	.set _Z16cuda_mat_J_PI_dpPKdPKiiS0_PdS0_.uses_vcc, 1
	.set _Z16cuda_mat_J_PI_dpPKdPKiiS0_PdS0_.uses_flat_scratch, 1
	.set _Z16cuda_mat_J_PI_dpPKdPKiiS0_PdS0_.has_dyn_sized_stack, 1
	.set _Z16cuda_mat_J_PI_dpPKdPKiiS0_PdS0_.has_recursion, 1
	.set _Z16cuda_mat_J_PI_dpPKdPKiiS0_PdS0_.has_indirect_call, 1
	.section	.AMDGPU.csdata,"",@progbits
; Kernel info:
; codeLenInByte = 2936
; TotalNumSgprs: _Z16cuda_mat_J_PI_dpPKdPKiiS0_PdS0_.numbered_sgpr+6
; NumVgprs: _Z16cuda_mat_J_PI_dpPKdPKiiS0_PdS0_.num_vgpr
; ScratchSize: 1120
; MemoryBound: 0
; FloatMode: 240
; IeeeMode: 1
; LDSByteSize: 512 bytes/workgroup (compile time only)
; SGPRBlocks: (alignto(max(max(_Z16cuda_mat_J_PI_dpPKdPKiiS0_PdS0_.numbered_sgpr+extrasgprs(_Z16cuda_mat_J_PI_dpPKdPKiiS0_PdS0_.uses_vcc, _Z16cuda_mat_J_PI_dpPKdPKiiS0_PdS0_.uses_flat_scratch, 1), 1, 0), 1), 8)/8)-1
; VGPRBlocks: (alignto(max(max(totalnumvgprs(_Z16cuda_mat_J_PI_dpPKdPKiiS0_PdS0_.num_agpr, _Z16cuda_mat_J_PI_dpPKdPKiiS0_PdS0_.num_vgpr), 1, 0), 1), 4)/4)-1
; NumSGPRsForWavesPerEU: max(_Z16cuda_mat_J_PI_dpPKdPKiiS0_PdS0_.numbered_sgpr+6, 1, 0)
; NumVGPRsForWavesPerEU: max(totalnumvgprs(_Z16cuda_mat_J_PI_dpPKdPKiiS0_PdS0_.num_agpr, _Z16cuda_mat_J_PI_dpPKdPKiiS0_PdS0_.num_vgpr), 1, 0)
; Occupancy: occupancy(10, 4, 256, 8, 10, max(_Z16cuda_mat_J_PI_dpPKdPKiiS0_PdS0_.numbered_sgpr+extrasgprs(_Z16cuda_mat_J_PI_dpPKdPKiiS0_PdS0_.uses_vcc, _Z16cuda_mat_J_PI_dpPKdPKiiS0_PdS0_.uses_flat_scratch, 1), 1, 0), max(totalnumvgprs(_Z16cuda_mat_J_PI_dpPKdPKiiS0_PdS0_.num_agpr, _Z16cuda_mat_J_PI_dpPKdPKiiS0_PdS0_.num_vgpr), 1, 0))
; WaveLimiterHint : 1
; COMPUTE_PGM_RSRC2:SCRATCH_EN: 1
; COMPUTE_PGM_RSRC2:USER_SGPR: 14
; COMPUTE_PGM_RSRC2:TRAP_HANDLER: 0
; COMPUTE_PGM_RSRC2:TGID_X_EN: 1
; COMPUTE_PGM_RSRC2:TGID_Y_EN: 1
; COMPUTE_PGM_RSRC2:TGID_Z_EN: 1
; COMPUTE_PGM_RSRC2:TIDIG_COMP_CNT: 2
	.text
	.protected	_Z16cuda_mat_K_PI_dpPKdPKiiS0_PdS0_ ; -- Begin function _Z16cuda_mat_K_PI_dpPKdPKiiS0_PdS0_
	.globl	_Z16cuda_mat_K_PI_dpPKdPKiiS0_PdS0_
	.p2align	8
	.type	_Z16cuda_mat_K_PI_dpPKdPKiiS0_PdS0_,@function
_Z16cuda_mat_K_PI_dpPKdPKiiS0_PdS0_:    ; @_Z16cuda_mat_K_PI_dpPKdPKiiS0_PdS0_
; %bb.0:
	s_load_dword s66, s[8:9], 0x10
	s_add_u32 flat_scratch_lo, s12, s17
	s_addc_u32 flat_scratch_hi, s13, 0
	s_add_u32 s0, s0, s17
	s_addc_u32 s1, s1, 0
	s_waitcnt lgkmcnt(0)
	s_cmp_ge_i32 s14, s66
	s_mov_b64 s[64:65], s[4:5]
	s_cselect_b64 s[4:5], -1, 0
	s_cmp_gt_i32 s15, s14
	s_mov_b64 s[54:55], s[6:7]
	s_cselect_b64 s[6:7], -1, 0
	s_or_b64 s[4:5], s[6:7], s[4:5]
	s_and_b64 vcc, exec, s[4:5]
	s_movk_i32 s32, 0x1000
	s_cbranch_vccnz .LBB2_11
; %bb.1:
	s_load_dwordx2 s[4:5], s[8:9], 0x20
	s_mov_b64 s[52:53], s[8:9]
	v_mov_b32_e32 v40, v1
	v_mov_b32_e32 v41, v0
                                        ; implicit-def: $vgpr63 : SGPR spill to VGPR lane
	s_add_u32 s8, s52, 48
	v_lshlrev_b32_e32 v0, 20, v2
	v_lshlrev_b32_e32 v1, 10, v40
	s_mov_b32 s33, s16
	s_mov_b32 s48, s14
	s_waitcnt lgkmcnt(0)
	v_writelane_b32 v63, s4, 0
	s_addc_u32 s9, s53, 0
	v_or3_b32 v42, v41, v1, v0
	v_writelane_b32 v63, s5, 1
	s_getpc_b64 s[16:17]
	s_add_u32 s16, s16, _Z16cuda_ij2intindexii@rel32@lo+4
	s_addc_u32 s17, s17, _Z16cuda_ij2intindexii@rel32@hi+12
	s_mov_b64 s[4:5], s[64:65]
	s_mov_b64 s[6:7], s[54:55]
	s_mov_b32 s12, s14
	s_mov_b32 s13, s15
	;; [unrolled: 1-line block ×3, first 2 shown]
	v_mov_b32_e32 v31, v42
	v_mov_b32_e32 v0, s48
	;; [unrolled: 1-line block ×3, first 2 shown]
	s_mov_b32 s38, s15
	s_mov_b64 s[50:51], s[10:11]
	s_swappc_b64 s[30:31], s[16:17]
	v_lshlrev_b32_e32 v56, 3, v40
	v_mov_b32_e32 v61, 0
	v_lshl_add_u32 v57, v41, 6, v56
	v_mov_b32_e32 v60, v61
	buffer_store_dword v0, off, s[0:3], 0 offset:52 ; 4-byte Folded Spill
	s_nop 0
	buffer_store_dword v1, off, s[0:3], 0 offset:56 ; 4-byte Folded Spill
	ds_write_b64 v57, v[60:61]
	v_cmp_gt_i32_e32 vcc, s66, v41
	s_mov_b64 s[4:5], exec
	v_writelane_b32 v63, s4, 2
	v_writelane_b32 v63, s5, 3
	s_and_b64 s[4:5], s[4:5], vcc
	s_mov_b64 exec, s[4:5]
	s_cbranch_execz .LBB2_9
; %bb.2:
	s_load_dwordx4 s[8:11], s[52:53], 0x0
	s_load_dwordx2 s[68:69], s[52:53], 0x18
	s_load_dwordx2 s[70:71], s[52:53], 0x28
	s_lshl_b32 s4, s48, 3
	s_ashr_i32 s5, s4, 31
	s_lshl_b64 s[4:5], s[4:5], 3
	s_waitcnt lgkmcnt(0)
	s_add_u32 s4, s8, s4
	v_writelane_b32 v63, s4, 4
	s_addc_u32 s4, s9, s5
	v_writelane_b32 v63, s4, 5
	s_lshl_b32 s4, s38, 3
	s_ashr_i32 s5, s4, 31
	s_lshl_b64 s[4:5], s[4:5], 3
	s_add_u32 s4, s8, s4
	v_writelane_b32 v63, s4, 6
	s_addc_u32 s4, s9, s5
	s_ashr_i32 s49, s48, 31
	v_writelane_b32 v63, s4, 7
	s_lshl_b64 s[4:5], s[48:49], 2
	s_add_u32 s4, s10, s4
	s_addc_u32 s5, s11, s5
	s_load_dword s12, s[4:5], 0x0
	s_ashr_i32 s39, s38, 31
	s_lshl_b64 s[6:7], s[38:39], 2
	s_add_u32 s6, s10, s6
	s_addc_u32 s7, s11, s7
	s_load_dword s39, s[6:7], 0x0
	s_waitcnt lgkmcnt(0)
	v_writelane_b32 v63, s12, 8
                                        ; kill: killed $sgpr4 killed $sgpr5
	v_cmp_gt_u32_e64 s[4:5], s66, v40
	v_writelane_b32 v63, s4, 9
	v_writelane_b32 v63, s5, 10
	v_lshlrev_b32_e32 v0, 2, v40
	v_mov_b32_e32 v1, s11
	v_add_co_u32_e32 v0, vcc, s10, v0
	v_writelane_b32 v63, s8, 11
	v_writelane_b32 v63, s9, 12
	;; [unrolled: 1-line block ×20, first 2 shown]
	v_addc_co_u32_e32 v1, vcc, 0, v1, vcc
	v_writelane_b32 v63, s70, 31
	buffer_store_dword v0, off, s[0:3], 0 offset:44 ; 4-byte Folded Spill
	s_nop 0
	buffer_store_dword v1, off, s[0:3], 0 offset:48 ; 4-byte Folded Spill
	s_mov_b32 s80, 0x97d889bc
	v_writelane_b32 v63, s71, 32
	s_mov_b64 s[4:5], 0
	v_mov_b32_e32 v58, s11
	s_mov_b32 s81, 0x3c9cd2b2
	v_mov_b32_e32 v0, v41
	v_writelane_b32 v63, s39, 33
                                        ; kill: killed $sgpr6 killed $sgpr7
	s_branch .LBB2_4
.LBB2_3:                                ;   in Loop: Header=BB2_4 Depth=1
	v_readlane_b32 s4, v63, 36
	v_readlane_b32 s5, v63, 37
	s_or_b64 exec, exec, s[4:5]
	buffer_load_dword v0, off, s[0:3], 0 offset:36 ; 4-byte Folded Reload
	buffer_load_dword v1, off, s[0:3], 0 offset:40 ; 4-byte Folded Reload
	v_readlane_b32 s4, v63, 34
	v_readlane_b32 s5, v63, 35
	s_waitcnt vmcnt(1)
	v_add_u32_e32 v0, 8, v0
	v_cmp_le_i32_e32 vcc, s66, v0
	s_or_b64 s[4:5], vcc, s[4:5]
	s_andn2_b64 exec, exec, s[4:5]
	s_cbranch_execz .LBB2_9
.LBB2_4:                                ; =>This Loop Header: Depth=1
                                        ;     Child Loop BB2_7 Depth 2
	v_writelane_b32 v63, s4, 34
	v_writelane_b32 v63, s5, 35
	s_waitcnt vmcnt(0)
	v_mov_b32_e32 v1, v61
	v_mov_b32_e32 v2, v0
	v_lshlrev_b64 v[0:1], 2, v[0:1]
	v_readlane_b32 s4, v63, 11
	v_readlane_b32 s6, v63, 13
	v_add_co_u32_e32 v0, vcc, s6, v0
	buffer_store_dword v2, off, s[0:3], 0 offset:36 ; 4-byte Folded Spill
	s_nop 0
	buffer_store_dword v3, off, s[0:3], 0 offset:40 ; 4-byte Folded Spill
	v_addc_co_u32_e32 v1, vcc, v58, v1, vcc
	global_load_dword v43, v[0:1], off
	s_add_u32 s8, s52, 48
	v_readlane_b32 s5, v63, 12
	v_readlane_b32 s7, v63, 14
	s_addc_u32 s9, s53, 0
	v_readlane_b32 s15, v63, 8
	s_getpc_b64 s[16:17]
	s_add_u32 s16, s16, _Z16cuda_ij2intindexii@rel32@lo+4
	s_addc_u32 s17, s17, _Z16cuda_ij2intindexii@rel32@hi+12
	s_mov_b64 s[4:5], s[64:65]
	s_mov_b64 s[6:7], s[54:55]
	;; [unrolled: 1-line block ×3, first 2 shown]
	s_mov_b32 s12, s48
	s_mov_b32 s13, s38
	;; [unrolled: 1-line block ×3, first 2 shown]
	v_mov_b32_e32 v31, v42
	v_mov_b32_e32 v0, s15
	s_waitcnt vmcnt(0)
	v_mov_b32_e32 v1, v43
	s_swappc_b64 s[30:31], s[16:17]
	s_mov_b64 s[6:7], exec
	v_readlane_b32 s4, v63, 9
	v_readlane_b32 s5, v63, 10
	v_writelane_b32 v63, s6, 36
	v_writelane_b32 v63, s7, 37
	s_and_b64 s[4:5], s[6:7], s[4:5]
	s_mov_b64 exec, s[4:5]
	s_cbranch_execz .LBB2_3
; %bb.5:                                ;   in Loop: Header=BB2_4 Depth=1
	buffer_load_dword v1, off, s[0:3], 0 offset:36 ; 4-byte Folded Reload
	buffer_load_dword v2, off, s[0:3], 0 offset:40 ; 4-byte Folded Reload
	v_readlane_b32 s4, v63, 11
	v_readlane_b32 s5, v63, 12
	v_mov_b32_e32 v3, s5
	s_mov_b64 s[82:83], 0
	v_mov_b32_e32 v59, v40
	v_readlane_b32 s6, v63, 13
	v_readlane_b32 s7, v63, 14
	s_waitcnt vmcnt(1)
	v_lshlrev_b32_e32 v60, 3, v1
	s_waitcnt vmcnt(0)
	v_lshlrev_b64 v[1:2], 3, v[60:61]
	v_mov_b32_e32 v60, v56
	v_add_co_u32_e32 v44, vcc, s4, v1
	v_ashrrev_i32_e32 v1, 31, v0
	v_lshlrev_b64 v[0:1], 3, v[0:1]
	v_addc_co_u32_e32 v45, vcc, v3, v2, vcc
	v_mov_b32_e32 v2, s71
	v_add_co_u32_e32 v0, vcc, s70, v0
	v_addc_co_u32_e32 v1, vcc, v2, v1, vcc
	buffer_store_dword v0, off, s[0:3], 0 offset:8 ; 4-byte Folded Spill
	s_nop 0
	buffer_store_dword v1, off, s[0:3], 0 offset:12 ; 4-byte Folded Spill
	buffer_load_dword v0, off, s[0:3], 0 offset:44 ; 4-byte Folded Reload
	s_nop 0
	buffer_load_dword v1, off, s[0:3], 0 offset:48 ; 4-byte Folded Reload
	s_branch .LBB2_7
.LBB2_6:                                ;   in Loop: Header=BB2_7 Depth=2
	s_or_b64 exec, exec, s[6:7]
	buffer_load_dword v0, off, s[0:3], 0    ; 4-byte Folded Reload
	buffer_load_dword v1, off, s[0:3], 0 offset:4 ; 4-byte Folded Reload
	v_add_u32_e32 v59, 8, v59
	v_add_u32_e32 v60, 64, v60
	s_waitcnt vmcnt(1)
	v_add_co_u32_e32 v0, vcc, 32, v0
	s_waitcnt vmcnt(0)
	v_addc_co_u32_e32 v1, vcc, 0, v1, vcc
	v_cmp_le_i32_e32 vcc, s66, v59
	s_or_b64 s[82:83], vcc, s[82:83]
	s_andn2_b64 exec, exec, s[82:83]
	s_cbranch_execz .LBB2_3
.LBB2_7:                                ;   Parent Loop BB2_4 Depth=1
                                        ; =>  This Inner Loop Header: Depth=2
	s_waitcnt vmcnt(1)
	buffer_store_dword v0, off, s[0:3], 0   ; 4-byte Folded Spill
	s_waitcnt vmcnt(1)
	buffer_store_dword v1, off, s[0:3], 0 offset:4 ; 4-byte Folded Spill
	s_add_u32 s34, s52, 48
	s_addc_u32 s35, s53, 0
	s_getpc_b64 s[36:37]
	s_add_u32 s36, s36, _Z16cuda_ij2intindexii@rel32@lo+4
	s_addc_u32 s37, s37, _Z16cuda_ij2intindexii@rel32@hi+12
	s_mov_b64 s[4:5], s[64:65]
	s_mov_b64 s[6:7], s[54:55]
	;; [unrolled: 1-line block ×4, first 2 shown]
	s_mov_b32 s12, s48
	s_mov_b32 s13, s38
	;; [unrolled: 1-line block ×3, first 2 shown]
	v_mov_b32_e32 v31, v42
	global_load_dword v47, v[0:1], off
	v_mov_b32_e32 v0, s39
	s_waitcnt vmcnt(0)
	v_mov_b32_e32 v1, v47
	s_swappc_b64 s[30:31], s[36:37]
	v_mov_b32_e32 v46, v0
	s_mov_b64 s[4:5], s[64:65]
	s_mov_b64 s[6:7], s[54:55]
	;; [unrolled: 1-line block ×4, first 2 shown]
	s_mov_b32 s12, s48
	s_mov_b32 s13, s38
	;; [unrolled: 1-line block ×3, first 2 shown]
	v_mov_b32_e32 v31, v42
	v_mov_b32_e32 v0, v43
	;; [unrolled: 1-line block ×3, first 2 shown]
	s_swappc_b64 s[30:31], s[36:37]
	v_ashrrev_i32_e32 v47, 31, v46
	v_lshlrev_b64 v[1:2], 3, v[46:47]
	v_mov_b32_e32 v3, s71
	v_add_co_u32_e32 v1, vcc, s70, v1
	v_addc_co_u32_e32 v2, vcc, v3, v2, vcc
	buffer_load_dword v3, off, s[0:3], 0 offset:8 ; 4-byte Folded Reload
	buffer_load_dword v4, off, s[0:3], 0 offset:12 ; 4-byte Folded Reload
	s_waitcnt vmcnt(0)
	global_load_dwordx2 v[3:4], v[3:4], off
	s_nop 0
	global_load_dwordx2 v[5:6], v[1:2], off
	v_ashrrev_i32_e32 v1, 31, v0
	v_lshlrev_b64 v[0:1], 3, v[0:1]
	v_mov_b32_e32 v2, s69
	v_add_co_u32_e32 v0, vcc, s68, v0
	v_addc_co_u32_e32 v1, vcc, v2, v1, vcc
	global_load_dwordx2 v[7:8], v[0:1], off
	s_waitcnt vmcnt(1)
	v_mul_f64 v[0:1], v[3:4], v[5:6]
	s_waitcnt vmcnt(0)
	v_mul_f64 v[0:1], v[0:1], v[7:8]
	v_cmp_nlt_f64_e64 s[4:5], |v[0:1]|, s[80:81]
	s_and_saveexec_b64 s[6:7], s[4:5]
	s_cbranch_execz .LBB2_6
; %bb.8:                                ;   in Loop: Header=BB2_7 Depth=2
	v_writelane_b32 v63, s6, 38
	v_writelane_b32 v63, s7, 39
	v_lshlrev_b64 v[0:1], 3, v[60:61]
	v_readlane_b32 s4, v63, 11
	v_readlane_b32 s5, v63, 12
	;; [unrolled: 1-line block ×3, first 2 shown]
	v_mov_b32_e32 v2, s5
	v_add_co_u32_e32 v6, vcc, s4, v0
	buffer_store_dword v7, off, s[0:3], 0 offset:28 ; 4-byte Folded Spill
	s_nop 0
	buffer_store_dword v8, off, s[0:3], 0 offset:32 ; 4-byte Folded Spill
	v_mov_b32_e32 v0, s15
	v_readlane_b32 s15, v63, 5
	v_addc_co_u32_e32 v7, vcc, v2, v1, vcc
	v_mov_b32_e32 v1, s15
	v_readlane_b32 s15, v63, 6
	v_readlane_b32 s6, v63, 13
	;; [unrolled: 1-line block ×3, first 2 shown]
	s_add_u32 s8, s52, 48
	v_mov_b32_e32 v4, s15
	v_readlane_b32 s15, v63, 7
	v_writelane_b32 v63, s82, 40
	s_addc_u32 s9, s53, 0
	s_mov_b64 s[6:7], s[54:55]
	v_writelane_b32 v63, s83, 41
	s_getpc_b64 s[16:17]
	s_add_u32 s16, s16, _Z15cuda_rys_pbf_dpPKdS0_S0_S0_@rel32@lo+4
	s_addc_u32 s17, s17, _Z15cuda_rys_pbf_dpPKdS0_S0_S0_@rel32@hi+12
	s_mov_b64 s[4:5], s[64:65]
	s_mov_b64 s[10:11], s[50:51]
	s_mov_b32 s12, s48
	s_mov_b32 s13, s38
	;; [unrolled: 1-line block ×3, first 2 shown]
	v_mov_b32_e32 v31, v42
	v_mov_b32_e32 v2, v44
	;; [unrolled: 1-line block ×4, first 2 shown]
	s_or_saveexec_b64 s[100:101], -1
	buffer_store_dword v63, off, s[0:3], 0 offset:16 ; 4-byte Folded Spill
	s_mov_b64 exec, s[100:101]
	buffer_store_dword v60, off, s[0:3], 0 offset:20 ; 4-byte Folded Spill
	s_nop 0
	buffer_store_dword v61, off, s[0:3], 0 offset:24 ; 4-byte Folded Spill
	s_swappc_b64 s[30:31], s[16:17]
	buffer_load_dword v60, off, s[0:3], 0 offset:20 ; 4-byte Folded Reload
	buffer_load_dword v61, off, s[0:3], 0 offset:24 ; 4-byte Folded Reload
	s_or_saveexec_b64 s[100:101], -1
	buffer_load_dword v63, off, s[0:3], 0 offset:16 ; 4-byte Folded Reload
	s_mov_b64 exec, s[100:101]
	ds_read_b64 v[2:3], v57
	buffer_load_dword v4, off, s[0:3], 0 offset:28 ; 4-byte Folded Reload
	buffer_load_dword v5, off, s[0:3], 0 offset:32 ; 4-byte Folded Reload
	s_waitcnt vmcnt(2)
	v_readlane_b32 s38, v63, 16
	v_readlane_b32 s6, v63, 38
	;; [unrolled: 1-line block ×3, first 2 shown]
	s_mov_b32 s80, 0x97d889bc
	v_readlane_b32 s70, v63, 31
	v_readlane_b32 s68, v63, 29
	;; [unrolled: 1-line block ×9, first 2 shown]
	s_mov_b32 s81, 0x3c9cd2b2
	v_readlane_b32 s71, v63, 32
	v_readlane_b32 s69, v63, 30
	;; [unrolled: 1-line block ×11, first 2 shown]
	s_waitcnt vmcnt(0) lgkmcnt(0)
	v_fma_f64 v[0:1], v[4:5], v[0:1], v[2:3]
	ds_write_b64 v57, v[0:1]
	s_branch .LBB2_6
.LBB2_9:
	v_readlane_b32 s4, v63, 2
	v_readlane_b32 s5, v63, 3
	s_or_b64 exec, exec, s[4:5]
	v_or_b32_e32 v0, v41, v40
	v_cmp_eq_u32_e32 vcc, 0, v0
	s_waitcnt vmcnt(0) lgkmcnt(0)
	s_barrier
	s_and_saveexec_b64 s[4:5], vcc
	s_cbranch_execz .LBB2_11
; %bb.10:
	v_mov_b32_e32 v0, 0
	ds_read_b128 v[1:4], v0
	ds_read_b128 v[5:8], v0 offset:16
	v_readlane_b32 s4, v63, 0
	v_readlane_b32 s5, v63, 1
	s_waitcnt lgkmcnt(1)
	v_add_f64 v[1:2], v[1:2], 0
	v_add_f64 v[1:2], v[3:4], v[1:2]
	s_waitcnt lgkmcnt(0)
	v_add_f64 v[1:2], v[5:6], v[1:2]
	v_add_f64 v[9:10], v[7:8], v[1:2]
	ds_read_b128 v[1:4], v0 offset:32
	ds_read_b128 v[5:8], v0 offset:48
	s_waitcnt lgkmcnt(1)
	v_add_f64 v[1:2], v[1:2], v[9:10]
	v_add_f64 v[1:2], v[3:4], v[1:2]
	s_waitcnt lgkmcnt(0)
	v_add_f64 v[1:2], v[5:6], v[1:2]
	v_add_f64 v[9:10], v[7:8], v[1:2]
	ds_read_b128 v[1:4], v0 offset:64
	ds_read_b128 v[5:8], v0 offset:80
	;; [unrolled: 8-line block ×15, first 2 shown]
	s_waitcnt lgkmcnt(1)
	v_add_f64 v[0:1], v[1:2], v[9:10]
	v_add_f64 v[0:1], v[3:4], v[0:1]
	buffer_load_dword v2, off, s[0:3], 0 offset:52 ; 4-byte Folded Reload
	buffer_load_dword v3, off, s[0:3], 0 offset:56 ; 4-byte Folded Reload
	v_mov_b32_e32 v4, s5
	s_waitcnt lgkmcnt(0)
	v_add_f64 v[0:1], v[5:6], v[0:1]
	v_add_f64 v[0:1], v[7:8], v[0:1]
	s_waitcnt vmcnt(0)
	v_ashrrev_i32_e32 v3, 31, v2
	v_lshlrev_b64 v[2:3], 3, v[2:3]
	v_add_co_u32_e32 v2, vcc, s4, v2
	v_addc_co_u32_e32 v3, vcc, v4, v3, vcc
	global_store_dwordx2 v[2:3], v[0:1], off
.LBB2_11:
	s_endpgm
	.section	.rodata,"a",@progbits
	.p2align	6, 0x0
	.amdhsa_kernel _Z16cuda_mat_K_PI_dpPKdPKiiS0_PdS0_
		.amdhsa_group_segment_fixed_size 512
		.amdhsa_private_segment_fixed_size 1120
		.amdhsa_kernarg_size 304
		.amdhsa_user_sgpr_count 14
		.amdhsa_user_sgpr_private_segment_buffer 1
		.amdhsa_user_sgpr_dispatch_ptr 1
		.amdhsa_user_sgpr_queue_ptr 1
		.amdhsa_user_sgpr_kernarg_segment_ptr 1
		.amdhsa_user_sgpr_dispatch_id 1
		.amdhsa_user_sgpr_flat_scratch_init 1
		.amdhsa_user_sgpr_private_segment_size 0
		.amdhsa_uses_dynamic_stack 1
		.amdhsa_system_sgpr_private_segment_wavefront_offset 1
		.amdhsa_system_sgpr_workgroup_id_x 1
		.amdhsa_system_sgpr_workgroup_id_y 1
		.amdhsa_system_sgpr_workgroup_id_z 1
		.amdhsa_system_sgpr_workgroup_info 0
		.amdhsa_system_vgpr_workitem_id 2
		.amdhsa_next_free_vgpr max(totalnumvgprs(_Z16cuda_mat_K_PI_dpPKdPKiiS0_PdS0_.num_agpr, _Z16cuda_mat_K_PI_dpPKdPKiiS0_PdS0_.num_vgpr), 1, 0)
		.amdhsa_next_free_sgpr max(_Z16cuda_mat_K_PI_dpPKdPKiiS0_PdS0_.numbered_sgpr+6, 1, 0)-6
		.amdhsa_reserve_vcc 1
		.amdhsa_reserve_flat_scratch 1
		.amdhsa_float_round_mode_32 0
		.amdhsa_float_round_mode_16_64 0
		.amdhsa_float_denorm_mode_32 3
		.amdhsa_float_denorm_mode_16_64 3
		.amdhsa_dx10_clamp 1
		.amdhsa_ieee_mode 1
		.amdhsa_fp16_overflow 0
		.amdhsa_exception_fp_ieee_invalid_op 0
		.amdhsa_exception_fp_denorm_src 0
		.amdhsa_exception_fp_ieee_div_zero 0
		.amdhsa_exception_fp_ieee_overflow 0
		.amdhsa_exception_fp_ieee_underflow 0
		.amdhsa_exception_fp_ieee_inexact 0
		.amdhsa_exception_int_div_zero 0
	.end_amdhsa_kernel
	.text
.Lfunc_end2:
	.size	_Z16cuda_mat_K_PI_dpPKdPKiiS0_PdS0_, .Lfunc_end2-_Z16cuda_mat_K_PI_dpPKdPKiiS0_PdS0_
                                        ; -- End function
	.set _Z16cuda_mat_K_PI_dpPKdPKiiS0_PdS0_.num_vgpr, max(64, amdgpu.max_num_vgpr)
	.set _Z16cuda_mat_K_PI_dpPKdPKiiS0_PdS0_.num_agpr, max(0, amdgpu.max_num_agpr)
	.set _Z16cuda_mat_K_PI_dpPKdPKiiS0_PdS0_.numbered_sgpr, max(102, amdgpu.max_num_sgpr)
	.set _Z16cuda_mat_K_PI_dpPKdPKiiS0_PdS0_.num_named_barrier, max(0, amdgpu.max_num_named_barrier)
	.set _Z16cuda_mat_K_PI_dpPKdPKiiS0_PdS0_.private_seg_size, 64+max(.L_Z15cuda_rys_pbf_dpPKdS0_S0_S0_.private_seg_size)
	.set _Z16cuda_mat_K_PI_dpPKdPKiiS0_PdS0_.uses_vcc, 1
	.set _Z16cuda_mat_K_PI_dpPKdPKiiS0_PdS0_.uses_flat_scratch, 1
	.set _Z16cuda_mat_K_PI_dpPKdPKiiS0_PdS0_.has_dyn_sized_stack, 1
	.set _Z16cuda_mat_K_PI_dpPKdPKiiS0_PdS0_.has_recursion, 1
	.set _Z16cuda_mat_K_PI_dpPKdPKiiS0_PdS0_.has_indirect_call, 1
	.section	.AMDGPU.csdata,"",@progbits
; Kernel info:
; codeLenInByte = 3100
; TotalNumSgprs: _Z16cuda_mat_K_PI_dpPKdPKiiS0_PdS0_.numbered_sgpr+6
; NumVgprs: _Z16cuda_mat_K_PI_dpPKdPKiiS0_PdS0_.num_vgpr
; ScratchSize: 1120
; MemoryBound: 0
; FloatMode: 240
; IeeeMode: 1
; LDSByteSize: 512 bytes/workgroup (compile time only)
; SGPRBlocks: (alignto(max(max(_Z16cuda_mat_K_PI_dpPKdPKiiS0_PdS0_.numbered_sgpr+extrasgprs(_Z16cuda_mat_K_PI_dpPKdPKiiS0_PdS0_.uses_vcc, _Z16cuda_mat_K_PI_dpPKdPKiiS0_PdS0_.uses_flat_scratch, 1), 1, 0), 1), 8)/8)-1
; VGPRBlocks: (alignto(max(max(totalnumvgprs(_Z16cuda_mat_K_PI_dpPKdPKiiS0_PdS0_.num_agpr, _Z16cuda_mat_K_PI_dpPKdPKiiS0_PdS0_.num_vgpr), 1, 0), 1), 4)/4)-1
; NumSGPRsForWavesPerEU: max(_Z16cuda_mat_K_PI_dpPKdPKiiS0_PdS0_.numbered_sgpr+6, 1, 0)
; NumVGPRsForWavesPerEU: max(totalnumvgprs(_Z16cuda_mat_K_PI_dpPKdPKiiS0_PdS0_.num_agpr, _Z16cuda_mat_K_PI_dpPKdPKiiS0_PdS0_.num_vgpr), 1, 0)
; Occupancy: occupancy(10, 4, 256, 8, 10, max(_Z16cuda_mat_K_PI_dpPKdPKiiS0_PdS0_.numbered_sgpr+extrasgprs(_Z16cuda_mat_K_PI_dpPKdPKiiS0_PdS0_.uses_vcc, _Z16cuda_mat_K_PI_dpPKdPKiiS0_PdS0_.uses_flat_scratch, 1), 1, 0), max(totalnumvgprs(_Z16cuda_mat_K_PI_dpPKdPKiiS0_PdS0_.num_agpr, _Z16cuda_mat_K_PI_dpPKdPKiiS0_PdS0_.num_vgpr), 1, 0))
; WaveLimiterHint : 1
; COMPUTE_PGM_RSRC2:SCRATCH_EN: 1
; COMPUTE_PGM_RSRC2:USER_SGPR: 14
; COMPUTE_PGM_RSRC2:TRAP_HANDLER: 0
; COMPUTE_PGM_RSRC2:TGID_X_EN: 1
; COMPUTE_PGM_RSRC2:TGID_Y_EN: 1
; COMPUTE_PGM_RSRC2:TGID_Z_EN: 1
; COMPUTE_PGM_RSRC2:TIDIG_COMP_CNT: 2
	.section	.AMDGPU.gpr_maximums,"",@progbits
	.set amdgpu.max_num_vgpr, 64
	.set amdgpu.max_num_agpr, 0
	.set amdgpu.max_num_sgpr, 100
	.section	.AMDGPU.csdata,"",@progbits
	.type	__hip_cuid_e99c93190be42c85,@object ; @__hip_cuid_e99c93190be42c85
	.section	.bss,"aw",@nobits
	.globl	__hip_cuid_e99c93190be42c85
__hip_cuid_e99c93190be42c85:
	.byte	0                               ; 0x0
	.size	__hip_cuid_e99c93190be42c85, 1

	.hidden	_Z13cuda_binomialii
	.hidden	_Z16cuda_ij2intindexii
	.ident	"AMD clang version 22.0.0git (https://github.com/RadeonOpenCompute/llvm-project roc-7.2.4 26084 f58b06dce1f9c15707c5f808fd002e18c2accf7e)"
	.section	".note.GNU-stack","",@progbits
	.addrsig
	.addrsig_sym __hip_cuid_e99c93190be42c85
	.amdgpu_metadata
---
amdhsa.kernels:
  - .args:
      - .actual_access:  read_only
        .address_space:  global
        .offset:         0
        .size:           8
        .value_kind:     global_buffer
      - .actual_access:  read_only
        .address_space:  global
        .offset:         8
        .size:           8
        .value_kind:     global_buffer
      - .offset:         16
        .size:           4
        .value_kind:     by_value
      - .actual_access:  read_only
        .address_space:  global
        .offset:         24
        .size:           8
        .value_kind:     global_buffer
      - .actual_access:  write_only
        .address_space:  global
        .offset:         32
        .size:           8
        .value_kind:     global_buffer
      - .actual_access:  read_only
        .address_space:  global
        .offset:         40
        .size:           8
        .value_kind:     global_buffer
      - .offset:         48
        .size:           4
        .value_kind:     hidden_block_count_x
      - .offset:         52
        .size:           4
        .value_kind:     hidden_block_count_y
      - .offset:         56
        .size:           4
        .value_kind:     hidden_block_count_z
      - .offset:         60
        .size:           2
        .value_kind:     hidden_group_size_x
      - .offset:         62
        .size:           2
        .value_kind:     hidden_group_size_y
      - .offset:         64
        .size:           2
        .value_kind:     hidden_group_size_z
      - .offset:         66
        .size:           2
        .value_kind:     hidden_remainder_x
      - .offset:         68
        .size:           2
        .value_kind:     hidden_remainder_y
      - .offset:         70
        .size:           2
        .value_kind:     hidden_remainder_z
      - .offset:         88
        .size:           8
        .value_kind:     hidden_global_offset_x
      - .offset:         96
        .size:           8
        .value_kind:     hidden_global_offset_y
      - .offset:         104
        .size:           8
        .value_kind:     hidden_global_offset_z
      - .offset:         112
        .size:           2
        .value_kind:     hidden_grid_dims
      - .offset:         128
        .size:           8
        .value_kind:     hidden_hostcall_buffer
      - .offset:         136
        .size:           8
        .value_kind:     hidden_multigrid_sync_arg
      - .offset:         144
        .size:           8
        .value_kind:     hidden_heap_v1
      - .offset:         152
        .size:           8
        .value_kind:     hidden_default_queue
      - .offset:         160
        .size:           8
        .value_kind:     hidden_completion_action
      - .offset:         248
        .size:           8
        .value_kind:     hidden_queue_ptr
    .group_segment_fixed_size: 512
    .kernarg_segment_align: 8
    .kernarg_segment_size: 304
    .language:       OpenCL C
    .language_version:
      - 2
      - 0
    .max_flat_workgroup_size: 1024
    .name:           _Z16cuda_mat_J_PI_dpPKdPKiiS0_PdS0_
    .private_segment_fixed_size: 1120
    .sgpr_count:     108
    .sgpr_spill_count: 38
    .symbol:         _Z16cuda_mat_J_PI_dpPKdPKiiS0_PdS0_.kd
    .uniform_work_group_size: 1
    .uses_dynamic_stack: true
    .vgpr_count:     64
    .vgpr_spill_count: 15
    .wavefront_size: 64
  - .args:
      - .actual_access:  read_only
        .address_space:  global
        .offset:         0
        .size:           8
        .value_kind:     global_buffer
      - .actual_access:  read_only
        .address_space:  global
        .offset:         8
        .size:           8
        .value_kind:     global_buffer
      - .offset:         16
        .size:           4
        .value_kind:     by_value
      - .actual_access:  read_only
        .address_space:  global
        .offset:         24
        .size:           8
        .value_kind:     global_buffer
      - .actual_access:  write_only
        .address_space:  global
        .offset:         32
        .size:           8
        .value_kind:     global_buffer
      - .actual_access:  read_only
        .address_space:  global
        .offset:         40
        .size:           8
        .value_kind:     global_buffer
      - .offset:         48
        .size:           4
        .value_kind:     hidden_block_count_x
      - .offset:         52
        .size:           4
        .value_kind:     hidden_block_count_y
      - .offset:         56
        .size:           4
        .value_kind:     hidden_block_count_z
      - .offset:         60
        .size:           2
        .value_kind:     hidden_group_size_x
      - .offset:         62
        .size:           2
        .value_kind:     hidden_group_size_y
      - .offset:         64
        .size:           2
        .value_kind:     hidden_group_size_z
      - .offset:         66
        .size:           2
        .value_kind:     hidden_remainder_x
      - .offset:         68
        .size:           2
        .value_kind:     hidden_remainder_y
      - .offset:         70
        .size:           2
        .value_kind:     hidden_remainder_z
      - .offset:         88
        .size:           8
        .value_kind:     hidden_global_offset_x
      - .offset:         96
        .size:           8
        .value_kind:     hidden_global_offset_y
      - .offset:         104
        .size:           8
        .value_kind:     hidden_global_offset_z
      - .offset:         112
        .size:           2
        .value_kind:     hidden_grid_dims
      - .offset:         128
        .size:           8
        .value_kind:     hidden_hostcall_buffer
      - .offset:         136
        .size:           8
        .value_kind:     hidden_multigrid_sync_arg
      - .offset:         144
        .size:           8
        .value_kind:     hidden_heap_v1
      - .offset:         152
        .size:           8
        .value_kind:     hidden_default_queue
      - .offset:         160
        .size:           8
        .value_kind:     hidden_completion_action
      - .offset:         248
        .size:           8
        .value_kind:     hidden_queue_ptr
    .group_segment_fixed_size: 512
    .kernarg_segment_align: 8
    .kernarg_segment_size: 304
    .language:       OpenCL C
    .language_version:
      - 2
      - 0
    .max_flat_workgroup_size: 1024
    .name:           _Z16cuda_mat_K_PI_dpPKdPKiiS0_PdS0_
    .private_segment_fixed_size: 1120
    .sgpr_count:     108
    .sgpr_spill_count: 42
    .symbol:         _Z16cuda_mat_K_PI_dpPKdPKiiS0_PdS0_.kd
    .uniform_work_group_size: 1
    .uses_dynamic_stack: true
    .vgpr_count:     64
    .vgpr_spill_count: 15
    .wavefront_size: 64
amdhsa.target:   amdgcn-amd-amdhsa--gfx906
amdhsa.version:
  - 1
  - 2
...

	.end_amdgpu_metadata
